;; amdgpu-corpus repo=ROCm/rocSPARSE kind=compiled arch=gfx90a opt=O3
	.text
	.amdgcn_target "amdgcn-amd-amdhsa--gfx90a"
	.amdhsa_code_object_version 6
	.section	.text._ZN9rocsparseL23sddmm_ell_sample_kernelILi16ELi32EDF16_iDF16_EEvT2_S1_PKT3_lS1_PS2_PKS1_21rocsparse_index_base_,"axG",@progbits,_ZN9rocsparseL23sddmm_ell_sample_kernelILi16ELi32EDF16_iDF16_EEvT2_S1_PKT3_lS1_PS2_PKS1_21rocsparse_index_base_,comdat
	.globl	_ZN9rocsparseL23sddmm_ell_sample_kernelILi16ELi32EDF16_iDF16_EEvT2_S1_PKT3_lS1_PS2_PKS1_21rocsparse_index_base_ ; -- Begin function _ZN9rocsparseL23sddmm_ell_sample_kernelILi16ELi32EDF16_iDF16_EEvT2_S1_PKT3_lS1_PS2_PKS1_21rocsparse_index_base_
	.p2align	8
	.type	_ZN9rocsparseL23sddmm_ell_sample_kernelILi16ELi32EDF16_iDF16_EEvT2_S1_PKT3_lS1_PS2_PKS1_21rocsparse_index_base_,@function
_ZN9rocsparseL23sddmm_ell_sample_kernelILi16ELi32EDF16_iDF16_EEvT2_S1_PKT3_lS1_PS2_PKS1_21rocsparse_index_base_: ; @_ZN9rocsparseL23sddmm_ell_sample_kernelILi16ELi32EDF16_iDF16_EEvT2_S1_PKT3_lS1_PS2_PKS1_21rocsparse_index_base_
; %bb.0:
	s_load_dword s0, s[4:5], 0x18
	v_lshrrev_b32_e32 v1, 5, v0
	v_lshl_or_b32 v1, s6, 4, v1
	s_waitcnt lgkmcnt(0)
	v_cmp_gt_u32_e32 vcc, s0, v1
	s_and_saveexec_b64 s[0:1], vcc
	s_cbranch_execz .LBB0_6
; %bb.1:
	s_load_dwordx2 s[2:3], s[4:5], 0x0
	v_and_b32_e32 v4, 31, v0
	s_waitcnt lgkmcnt(0)
	v_cmp_gt_i32_e32 vcc, s2, v4
	s_and_b64 exec, exec, vcc
	s_cbranch_execz .LBB0_6
; %bb.2:
	s_load_dwordx4 s[16:19], s[4:5], 0x8
	s_load_dwordx4 s[8:11], s[4:5], 0x20
	s_load_dword s12, s[4:5], 0x30
	v_and_b32_e32 v0, 31, v0
	v_lshlrev_b32_e32 v0, 1, v0
	s_waitcnt lgkmcnt(0)
	v_mov_b32_e32 v3, s17
	v_add_co_u32_e32 v2, vcc, s16, v0
	v_mul_lo_u32 v5, v1, s2
	s_lshl_b64 s[4:5], s[18:19], 1
	v_mov_b32_e32 v1, 0
	v_addc_co_u32_e32 v3, vcc, 0, v3, vcc
	s_mov_b64 s[6:7], 0
	v_mov_b32_e32 v6, s11
	s_branch .LBB0_4
.LBB0_3:                                ;   in Loop: Header=BB0_4 Depth=1
	s_or_b64 exec, exec, s[0:1]
	v_add_u32_e32 v4, 32, v4
	v_cmp_le_i32_e32 vcc, s2, v4
	s_or_b64 s[6:7], vcc, s[6:7]
	v_add_co_u32_e32 v2, vcc, 64, v2
	v_addc_co_u32_e32 v3, vcc, 0, v3, vcc
	s_andn2_b64 exec, exec, s[6:7]
	s_cbranch_execz .LBB0_6
.LBB0_4:                                ; =>This Inner Loop Header: Depth=1
	v_add_u32_e32 v0, v5, v4
	v_lshlrev_b64 v[8:9], 2, v[0:1]
	v_add_co_u32_e32 v8, vcc, s10, v8
	v_addc_co_u32_e32 v9, vcc, v6, v9, vcc
	global_load_dword v7, v[8:9], off
	s_waitcnt vmcnt(0)
	v_subrev_u32_e32 v7, s12, v7
	v_cmp_lt_i32_e32 vcc, -1, v7
	v_cmp_gt_i32_e64 s[0:1], s3, v7
	s_and_b64 s[14:15], vcc, s[0:1]
	s_and_saveexec_b64 s[0:1], s[14:15]
	s_cbranch_execz .LBB0_3
; %bb.5:                                ;   in Loop: Header=BB0_4 Depth=1
	v_mad_u64_u32 v[8:9], s[14:15], s4, v7, v[2:3]
	v_mov_b32_e32 v10, v9
	v_mad_u64_u32 v[10:11], s[14:15], s5, v7, v[10:11]
	v_mov_b32_e32 v9, v10
	global_load_ushort v7, v[8:9], off
	v_lshlrev_b64 v[8:9], 1, v[0:1]
	v_mov_b32_e32 v0, s9
	v_add_co_u32_e32 v8, vcc, s8, v8
	v_addc_co_u32_e32 v9, vcc, v0, v9, vcc
	s_waitcnt vmcnt(0)
	global_store_short v[8:9], v7, off
	s_branch .LBB0_3
.LBB0_6:
	s_endpgm
	.section	.rodata,"a",@progbits
	.p2align	6, 0x0
	.amdhsa_kernel _ZN9rocsparseL23sddmm_ell_sample_kernelILi16ELi32EDF16_iDF16_EEvT2_S1_PKT3_lS1_PS2_PKS1_21rocsparse_index_base_
		.amdhsa_group_segment_fixed_size 0
		.amdhsa_private_segment_fixed_size 0
		.amdhsa_kernarg_size 52
		.amdhsa_user_sgpr_count 6
		.amdhsa_user_sgpr_private_segment_buffer 1
		.amdhsa_user_sgpr_dispatch_ptr 0
		.amdhsa_user_sgpr_queue_ptr 0
		.amdhsa_user_sgpr_kernarg_segment_ptr 1
		.amdhsa_user_sgpr_dispatch_id 0
		.amdhsa_user_sgpr_flat_scratch_init 0
		.amdhsa_user_sgpr_kernarg_preload_length 0
		.amdhsa_user_sgpr_kernarg_preload_offset 0
		.amdhsa_user_sgpr_private_segment_size 0
		.amdhsa_uses_dynamic_stack 0
		.amdhsa_system_sgpr_private_segment_wavefront_offset 0
		.amdhsa_system_sgpr_workgroup_id_x 1
		.amdhsa_system_sgpr_workgroup_id_y 0
		.amdhsa_system_sgpr_workgroup_id_z 0
		.amdhsa_system_sgpr_workgroup_info 0
		.amdhsa_system_vgpr_workitem_id 0
		.amdhsa_next_free_vgpr 12
		.amdhsa_next_free_sgpr 20
		.amdhsa_accum_offset 12
		.amdhsa_reserve_vcc 1
		.amdhsa_reserve_flat_scratch 0
		.amdhsa_float_round_mode_32 0
		.amdhsa_float_round_mode_16_64 0
		.amdhsa_float_denorm_mode_32 3
		.amdhsa_float_denorm_mode_16_64 3
		.amdhsa_dx10_clamp 1
		.amdhsa_ieee_mode 1
		.amdhsa_fp16_overflow 0
		.amdhsa_tg_split 0
		.amdhsa_exception_fp_ieee_invalid_op 0
		.amdhsa_exception_fp_denorm_src 0
		.amdhsa_exception_fp_ieee_div_zero 0
		.amdhsa_exception_fp_ieee_overflow 0
		.amdhsa_exception_fp_ieee_underflow 0
		.amdhsa_exception_fp_ieee_inexact 0
		.amdhsa_exception_int_div_zero 0
	.end_amdhsa_kernel
	.section	.text._ZN9rocsparseL23sddmm_ell_sample_kernelILi16ELi32EDF16_iDF16_EEvT2_S1_PKT3_lS1_PS2_PKS1_21rocsparse_index_base_,"axG",@progbits,_ZN9rocsparseL23sddmm_ell_sample_kernelILi16ELi32EDF16_iDF16_EEvT2_S1_PKT3_lS1_PS2_PKS1_21rocsparse_index_base_,comdat
.Lfunc_end0:
	.size	_ZN9rocsparseL23sddmm_ell_sample_kernelILi16ELi32EDF16_iDF16_EEvT2_S1_PKT3_lS1_PS2_PKS1_21rocsparse_index_base_, .Lfunc_end0-_ZN9rocsparseL23sddmm_ell_sample_kernelILi16ELi32EDF16_iDF16_EEvT2_S1_PKT3_lS1_PS2_PKS1_21rocsparse_index_base_
                                        ; -- End function
	.section	.AMDGPU.csdata,"",@progbits
; Kernel info:
; codeLenInByte = 304
; NumSgprs: 24
; NumVgprs: 12
; NumAgprs: 0
; TotalNumVgprs: 12
; ScratchSize: 0
; MemoryBound: 0
; FloatMode: 240
; IeeeMode: 1
; LDSByteSize: 0 bytes/workgroup (compile time only)
; SGPRBlocks: 2
; VGPRBlocks: 1
; NumSGPRsForWavesPerEU: 24
; NumVGPRsForWavesPerEU: 12
; AccumOffset: 12
; Occupancy: 8
; WaveLimiterHint : 1
; COMPUTE_PGM_RSRC2:SCRATCH_EN: 0
; COMPUTE_PGM_RSRC2:USER_SGPR: 6
; COMPUTE_PGM_RSRC2:TRAP_HANDLER: 0
; COMPUTE_PGM_RSRC2:TGID_X_EN: 1
; COMPUTE_PGM_RSRC2:TGID_Y_EN: 0
; COMPUTE_PGM_RSRC2:TGID_Z_EN: 0
; COMPUTE_PGM_RSRC2:TIDIG_COMP_CNT: 0
; COMPUTE_PGM_RSRC3_GFX90A:ACCUM_OFFSET: 2
; COMPUTE_PGM_RSRC3_GFX90A:TG_SPLIT: 0
	.section	.text._ZN9rocsparseL23sddmm_ell_sample_kernelILi16ELi64EDF16_iDF16_EEvT2_S1_PKT3_lS1_PS2_PKS1_21rocsparse_index_base_,"axG",@progbits,_ZN9rocsparseL23sddmm_ell_sample_kernelILi16ELi64EDF16_iDF16_EEvT2_S1_PKT3_lS1_PS2_PKS1_21rocsparse_index_base_,comdat
	.globl	_ZN9rocsparseL23sddmm_ell_sample_kernelILi16ELi64EDF16_iDF16_EEvT2_S1_PKT3_lS1_PS2_PKS1_21rocsparse_index_base_ ; -- Begin function _ZN9rocsparseL23sddmm_ell_sample_kernelILi16ELi64EDF16_iDF16_EEvT2_S1_PKT3_lS1_PS2_PKS1_21rocsparse_index_base_
	.p2align	8
	.type	_ZN9rocsparseL23sddmm_ell_sample_kernelILi16ELi64EDF16_iDF16_EEvT2_S1_PKT3_lS1_PS2_PKS1_21rocsparse_index_base_,@function
_ZN9rocsparseL23sddmm_ell_sample_kernelILi16ELi64EDF16_iDF16_EEvT2_S1_PKT3_lS1_PS2_PKS1_21rocsparse_index_base_: ; @_ZN9rocsparseL23sddmm_ell_sample_kernelILi16ELi64EDF16_iDF16_EEvT2_S1_PKT3_lS1_PS2_PKS1_21rocsparse_index_base_
; %bb.0:
	s_load_dword s0, s[4:5], 0x18
	v_lshrrev_b32_e32 v1, 6, v0
	v_lshl_or_b32 v1, s6, 4, v1
	s_waitcnt lgkmcnt(0)
	v_cmp_gt_u32_e32 vcc, s0, v1
	s_and_saveexec_b64 s[0:1], vcc
	s_cbranch_execz .LBB1_6
; %bb.1:
	s_load_dwordx2 s[2:3], s[4:5], 0x0
	v_and_b32_e32 v4, 63, v0
	s_waitcnt lgkmcnt(0)
	v_cmp_gt_i32_e32 vcc, s2, v4
	s_and_b64 exec, exec, vcc
	s_cbranch_execz .LBB1_6
; %bb.2:
	s_load_dwordx4 s[16:19], s[4:5], 0x8
	s_load_dwordx4 s[8:11], s[4:5], 0x20
	s_load_dword s12, s[4:5], 0x30
	v_and_b32_e32 v0, 63, v0
	v_lshlrev_b32_e32 v0, 1, v0
	s_waitcnt lgkmcnt(0)
	v_mov_b32_e32 v3, s17
	v_add_co_u32_e32 v2, vcc, s16, v0
	v_mul_lo_u32 v5, v1, s2
	s_lshl_b64 s[4:5], s[18:19], 1
	v_mov_b32_e32 v1, 0
	v_addc_co_u32_e32 v3, vcc, 0, v3, vcc
	s_mov_b64 s[6:7], 0
	v_mov_b32_e32 v6, s11
	s_branch .LBB1_4
.LBB1_3:                                ;   in Loop: Header=BB1_4 Depth=1
	s_or_b64 exec, exec, s[0:1]
	v_add_u32_e32 v4, 64, v4
	v_add_co_u32_e32 v2, vcc, 0x80, v2
	v_cmp_le_i32_e64 s[0:1], s2, v4
	s_or_b64 s[6:7], s[0:1], s[6:7]
	v_addc_co_u32_e32 v3, vcc, 0, v3, vcc
	s_andn2_b64 exec, exec, s[6:7]
	s_cbranch_execz .LBB1_6
.LBB1_4:                                ; =>This Inner Loop Header: Depth=1
	v_add_u32_e32 v0, v5, v4
	v_lshlrev_b64 v[8:9], 2, v[0:1]
	v_add_co_u32_e32 v8, vcc, s10, v8
	v_addc_co_u32_e32 v9, vcc, v6, v9, vcc
	global_load_dword v7, v[8:9], off
	s_waitcnt vmcnt(0)
	v_subrev_u32_e32 v7, s12, v7
	v_cmp_lt_i32_e32 vcc, -1, v7
	v_cmp_gt_i32_e64 s[0:1], s3, v7
	s_and_b64 s[14:15], vcc, s[0:1]
	s_and_saveexec_b64 s[0:1], s[14:15]
	s_cbranch_execz .LBB1_3
; %bb.5:                                ;   in Loop: Header=BB1_4 Depth=1
	v_mad_u64_u32 v[8:9], s[14:15], s4, v7, v[2:3]
	v_mov_b32_e32 v10, v9
	v_mad_u64_u32 v[10:11], s[14:15], s5, v7, v[10:11]
	v_mov_b32_e32 v9, v10
	global_load_ushort v7, v[8:9], off
	v_lshlrev_b64 v[8:9], 1, v[0:1]
	v_mov_b32_e32 v0, s9
	v_add_co_u32_e32 v8, vcc, s8, v8
	v_addc_co_u32_e32 v9, vcc, v0, v9, vcc
	s_waitcnt vmcnt(0)
	global_store_short v[8:9], v7, off
	s_branch .LBB1_3
.LBB1_6:
	s_endpgm
	.section	.rodata,"a",@progbits
	.p2align	6, 0x0
	.amdhsa_kernel _ZN9rocsparseL23sddmm_ell_sample_kernelILi16ELi64EDF16_iDF16_EEvT2_S1_PKT3_lS1_PS2_PKS1_21rocsparse_index_base_
		.amdhsa_group_segment_fixed_size 0
		.amdhsa_private_segment_fixed_size 0
		.amdhsa_kernarg_size 52
		.amdhsa_user_sgpr_count 6
		.amdhsa_user_sgpr_private_segment_buffer 1
		.amdhsa_user_sgpr_dispatch_ptr 0
		.amdhsa_user_sgpr_queue_ptr 0
		.amdhsa_user_sgpr_kernarg_segment_ptr 1
		.amdhsa_user_sgpr_dispatch_id 0
		.amdhsa_user_sgpr_flat_scratch_init 0
		.amdhsa_user_sgpr_kernarg_preload_length 0
		.amdhsa_user_sgpr_kernarg_preload_offset 0
		.amdhsa_user_sgpr_private_segment_size 0
		.amdhsa_uses_dynamic_stack 0
		.amdhsa_system_sgpr_private_segment_wavefront_offset 0
		.amdhsa_system_sgpr_workgroup_id_x 1
		.amdhsa_system_sgpr_workgroup_id_y 0
		.amdhsa_system_sgpr_workgroup_id_z 0
		.amdhsa_system_sgpr_workgroup_info 0
		.amdhsa_system_vgpr_workitem_id 0
		.amdhsa_next_free_vgpr 12
		.amdhsa_next_free_sgpr 20
		.amdhsa_accum_offset 12
		.amdhsa_reserve_vcc 1
		.amdhsa_reserve_flat_scratch 0
		.amdhsa_float_round_mode_32 0
		.amdhsa_float_round_mode_16_64 0
		.amdhsa_float_denorm_mode_32 3
		.amdhsa_float_denorm_mode_16_64 3
		.amdhsa_dx10_clamp 1
		.amdhsa_ieee_mode 1
		.amdhsa_fp16_overflow 0
		.amdhsa_tg_split 0
		.amdhsa_exception_fp_ieee_invalid_op 0
		.amdhsa_exception_fp_denorm_src 0
		.amdhsa_exception_fp_ieee_div_zero 0
		.amdhsa_exception_fp_ieee_overflow 0
		.amdhsa_exception_fp_ieee_underflow 0
		.amdhsa_exception_fp_ieee_inexact 0
		.amdhsa_exception_int_div_zero 0
	.end_amdhsa_kernel
	.section	.text._ZN9rocsparseL23sddmm_ell_sample_kernelILi16ELi64EDF16_iDF16_EEvT2_S1_PKT3_lS1_PS2_PKS1_21rocsparse_index_base_,"axG",@progbits,_ZN9rocsparseL23sddmm_ell_sample_kernelILi16ELi64EDF16_iDF16_EEvT2_S1_PKT3_lS1_PS2_PKS1_21rocsparse_index_base_,comdat
.Lfunc_end1:
	.size	_ZN9rocsparseL23sddmm_ell_sample_kernelILi16ELi64EDF16_iDF16_EEvT2_S1_PKT3_lS1_PS2_PKS1_21rocsparse_index_base_, .Lfunc_end1-_ZN9rocsparseL23sddmm_ell_sample_kernelILi16ELi64EDF16_iDF16_EEvT2_S1_PKT3_lS1_PS2_PKS1_21rocsparse_index_base_
                                        ; -- End function
	.section	.AMDGPU.csdata,"",@progbits
; Kernel info:
; codeLenInByte = 312
; NumSgprs: 24
; NumVgprs: 12
; NumAgprs: 0
; TotalNumVgprs: 12
; ScratchSize: 0
; MemoryBound: 0
; FloatMode: 240
; IeeeMode: 1
; LDSByteSize: 0 bytes/workgroup (compile time only)
; SGPRBlocks: 2
; VGPRBlocks: 1
; NumSGPRsForWavesPerEU: 24
; NumVGPRsForWavesPerEU: 12
; AccumOffset: 12
; Occupancy: 8
; WaveLimiterHint : 1
; COMPUTE_PGM_RSRC2:SCRATCH_EN: 0
; COMPUTE_PGM_RSRC2:USER_SGPR: 6
; COMPUTE_PGM_RSRC2:TRAP_HANDLER: 0
; COMPUTE_PGM_RSRC2:TGID_X_EN: 1
; COMPUTE_PGM_RSRC2:TGID_Y_EN: 0
; COMPUTE_PGM_RSRC2:TGID_Z_EN: 0
; COMPUTE_PGM_RSRC2:TIDIG_COMP_CNT: 0
; COMPUTE_PGM_RSRC3_GFX90A:ACCUM_OFFSET: 2
; COMPUTE_PGM_RSRC3_GFX90A:TG_SPLIT: 0
	.section	.text._ZN9rocsparseL16sddmm_ell_kernelILi512ELi8EDF16_iiDF16_DF16_DF16_EEv20rocsparse_operation_S1_16rocsparse_order_S2_T3_S3_S3_T2_NS_24const_host_device_scalarIT1_EEPKT4_lPKT5_lS7_PT6_PKS3_21rocsparse_index_base_b,"axG",@progbits,_ZN9rocsparseL16sddmm_ell_kernelILi512ELi8EDF16_iiDF16_DF16_DF16_EEv20rocsparse_operation_S1_16rocsparse_order_S2_T3_S3_S3_T2_NS_24const_host_device_scalarIT1_EEPKT4_lPKT5_lS7_PT6_PKS3_21rocsparse_index_base_b,comdat
	.globl	_ZN9rocsparseL16sddmm_ell_kernelILi512ELi8EDF16_iiDF16_DF16_DF16_EEv20rocsparse_operation_S1_16rocsparse_order_S2_T3_S3_S3_T2_NS_24const_host_device_scalarIT1_EEPKT4_lPKT5_lS7_PT6_PKS3_21rocsparse_index_base_b ; -- Begin function _ZN9rocsparseL16sddmm_ell_kernelILi512ELi8EDF16_iiDF16_DF16_DF16_EEv20rocsparse_operation_S1_16rocsparse_order_S2_T3_S3_S3_T2_NS_24const_host_device_scalarIT1_EEPKT4_lPKT5_lS7_PT6_PKS3_21rocsparse_index_base_b
	.p2align	8
	.type	_ZN9rocsparseL16sddmm_ell_kernelILi512ELi8EDF16_iiDF16_DF16_DF16_EEv20rocsparse_operation_S1_16rocsparse_order_S2_T3_S3_S3_T2_NS_24const_host_device_scalarIT1_EEPKT4_lPKT5_lS7_PT6_PKS3_21rocsparse_index_base_b,@function
_ZN9rocsparseL16sddmm_ell_kernelILi512ELi8EDF16_iiDF16_DF16_DF16_EEv20rocsparse_operation_S1_16rocsparse_order_S2_T3_S3_S3_T2_NS_24const_host_device_scalarIT1_EEPKT4_lPKT5_lS7_PT6_PKS3_21rocsparse_index_base_b: ; @_ZN9rocsparseL16sddmm_ell_kernelILi512ELi8EDF16_iiDF16_DF16_DF16_EEv20rocsparse_operation_S1_16rocsparse_order_S2_T3_S3_S3_T2_NS_24const_host_device_scalarIT1_EEPKT4_lPKT5_lS7_PT6_PKS3_21rocsparse_index_base_b
; %bb.0:
	s_load_dwordx2 s[2:3], s[4:5], 0x60
	s_load_dwordx2 s[12:13], s[4:5], 0x20
	s_load_dwordx4 s[8:11], s[4:5], 0x40
	s_waitcnt lgkmcnt(0)
	s_bitcmp1_b32 s3, 0
	s_cselect_b64 s[14:15], -1, 0
	s_xor_b64 s[0:1], s[14:15], -1
	s_and_b64 vcc, exec, s[14:15]
	v_mov_b32_e32 v10, s12
	s_cbranch_vccnz .LBB2_2
; %bb.1:
	v_mov_b32_e32 v1, 0
	global_load_ushort v10, v1, s[12:13]
.LBB2_2:
	s_andn2_b64 vcc, exec, s[0:1]
	v_mov_b32_e32 v11, s10
	s_cbranch_vccnz .LBB2_4
; %bb.3:
	v_mov_b32_e32 v1, 0
	global_load_ushort v11, v1, s[10:11]
.LBB2_4:
	s_waitcnt vmcnt(0)
	v_cmp_eq_f16_e32 vcc, 0, v10
	v_cmp_eq_f16_e64 s[0:1], 1.0, v11
	s_and_b64 s[0:1], vcc, s[0:1]
	s_and_b64 vcc, exec, s[0:1]
	s_cbranch_vccnz .LBB2_35
; %bb.5:
	s_load_dwordx2 s[10:11], s[4:5], 0x18
	v_lshrrev_b32_e32 v12, 3, v0
	v_lshl_or_b32 v2, s6, 6, v12
	s_waitcnt lgkmcnt(0)
	v_cmp_gt_i32_e32 vcc, s11, v2
	s_and_saveexec_b64 s[0:1], vcc
	s_cbranch_execz .LBB2_35
; %bb.6:
	s_load_dwordx2 s[0:1], s[4:5], 0x58
	v_ashrrev_i32_e32 v3, 31, v2
	v_lshlrev_b64 v[4:5], 2, v[2:3]
	s_waitcnt lgkmcnt(0)
	v_mov_b32_e32 v1, s1
	v_add_co_u32_e32 v4, vcc, s0, v4
	v_addc_co_u32_e32 v5, vcc, v1, v5, vcc
	global_load_dword v1, v[4:5], off
	s_waitcnt vmcnt(0)
	v_subrev_u32_e32 v4, s2, v1
	v_cmp_lt_i32_e32 vcc, -1, v4
	s_and_b64 exec, exec, vcc
	s_cbranch_execz .LBB2_35
; %bb.7:
	s_load_dwordx4 s[0:3], s[4:5], 0x0
	s_load_dword s11, s[4:5], 0x10
	v_sub_u32_e32 v5, 0, v2
	v_max_i32_e32 v5, v2, v5
	s_load_dwordx2 s[14:15], s[4:5], 0x30
	s_waitcnt lgkmcnt(0)
	s_cmp_eq_u32 s2, 1
	s_cselect_b64 s[6:7], -1, 0
	s_cmpk_eq_i32 s0, 0x6f
	s_cselect_b64 s[12:13], -1, 0
	s_cmpk_lg_i32 s0, 0x6f
	s_cselect_b64 s[16:17], -1, 0
	s_abs_i32 s0, s11
	v_cvt_f32_u32_e32 v1, s0
	s_sub_i32 s11, 0, s0
	s_cmp_lg_u32 s2, 1
	v_rcp_iflag_f32_e32 v1, v1
	v_mul_f32_e32 v1, 0x4f7ffffe, v1
	v_cvt_u32_f32_e32 v1, v1
	v_mul_lo_u32 v6, s11, v1
	v_mul_hi_u32 v6, v1, v6
	v_add_u32_e32 v1, v1, v6
	v_mul_hi_u32 v1, v5, v1
	v_mul_lo_u32 v1, v1, s0
	v_sub_u32_e32 v1, v5, v1
	v_subrev_u32_e32 v5, s0, v1
	v_cmp_le_u32_e32 vcc, s0, v1
	v_cndmask_b32_e32 v1, v1, v5, vcc
	v_subrev_u32_e32 v5, s0, v1
	v_cmp_le_u32_e32 vcc, s0, v1
	v_cndmask_b32_e32 v1, v1, v5, vcc
	v_xor_b32_e32 v1, v1, v3
	v_sub_u32_e32 v8, v1, v3
	v_ashrrev_i32_e32 v9, 31, v8
	s_cbranch_scc0 .LBB2_11
; %bb.8:
	s_andn2_b64 vcc, exec, s[12:13]
	v_pk_mov_b32 v[6:7], v[8:9], v[8:9] op_sel:[0,1]
	s_cbranch_vccnz .LBB2_10
; %bb.9:
	v_mul_lo_u32 v1, v9, s14
	v_mul_lo_u32 v5, v8, s15
	v_mad_u64_u32 v[6:7], s[18:19], v8, s14, 0
	v_add3_u32 v7, v7, v5, v1
.LBB2_10:
	s_cbranch_execz .LBB2_12
	s_branch .LBB2_15
.LBB2_11:
                                        ; implicit-def: $vgpr6_vgpr7
.LBB2_12:
	s_andn2_b64 vcc, exec, s[16:17]
	s_cbranch_vccnz .LBB2_14
; %bb.13:
	v_mul_lo_u32 v1, v9, s14
	v_mul_lo_u32 v5, v8, s15
	v_mad_u64_u32 v[8:9], s[16:17], v8, s14, 0
	v_add3_u32 v9, v9, v5, v1
.LBB2_14:
	v_pk_mov_b32 v[6:7], v[8:9], v[8:9] op_sel:[0,1]
.LBB2_15:
	s_cmp_eq_u32 s3, 1
	s_cselect_b64 s[16:17], -1, 0
	s_cmpk_eq_i32 s1, 0x6f
	s_cselect_b64 s[18:19], -1, 0
	s_cmpk_lg_i32 s1, 0x6f
	s_cselect_b64 s[0:1], -1, 0
	s_cmp_lg_u32 s3, 1
	v_mov_b32_e32 v5, 0
	s_cbranch_scc0 .LBB2_19
; %bb.16:
	s_andn2_b64 vcc, exec, s[0:1]
	v_pk_mov_b32 v[8:9], v[4:5], v[4:5] op_sel:[0,1]
	s_cbranch_vccnz .LBB2_18
; %bb.17:
	v_mad_u64_u32 v[8:9], s[0:1], v4, s8, 0
	v_mov_b32_e32 v14, v9
	v_mad_u64_u32 v[14:15], s[0:1], v4, s9, v[14:15]
	v_mov_b32_e32 v9, v14
.LBB2_18:
	s_cbranch_execz .LBB2_20
	s_branch .LBB2_23
.LBB2_19:
                                        ; implicit-def: $vgpr8_vgpr9
.LBB2_20:
	s_andn2_b64 vcc, exec, s[18:19]
	s_cbranch_vccnz .LBB2_22
; %bb.21:
	v_mad_u64_u32 v[8:9], s[0:1], v4, s8, 0
	v_mov_b32_e32 v14, v9
	v_mad_u64_u32 v[4:5], s[0:1], v4, s9, v[14:15]
	v_mov_b32_e32 v9, v4
	v_pk_mov_b32 v[4:5], v[8:9], v[8:9] op_sel:[0,1]
.LBB2_22:
	v_pk_mov_b32 v[8:9], v[4:5], v[4:5] op_sel:[0,1]
.LBB2_23:
	s_load_dwordx2 s[0:1], s[4:5], 0x50
	v_and_b32_e32 v13, 7, v0
	v_cmp_gt_i32_e32 vcc, s10, v13
	v_mov_b32_e32 v14, 0
	s_and_saveexec_b64 s[2:3], vcc
	s_cbranch_execz .LBB2_27
; %bb.24:
	s_load_dwordx2 s[20:21], s[4:5], 0x28
	s_load_dwordx2 s[22:23], s[4:5], 0x38
	s_xor_b64 s[4:5], s[12:13], s[6:7]
	s_and_b64 s[4:5], s[4:5], exec
	s_cselect_b32 s5, 0, s15
	s_cselect_b32 s4, 1, s14
	s_xor_b64 s[6:7], s[18:19], s[16:17]
	s_and_b64 s[6:7], s[6:7], exec
	v_and_b32_e32 v14, 7, v0
	s_cselect_b32 s7, s9, 0
	s_cselect_b32 s6, s8, 1
	v_mad_u64_u32 v[0:1], s[8:9], s4, v14, 0
	v_mov_b32_e32 v4, v1
	v_mad_u64_u32 v[4:5], s[8:9], s5, v14, v[4:5]
	v_mov_b32_e32 v1, v4
	v_lshlrev_b64 v[0:1], 1, v[0:1]
	v_lshlrev_b64 v[4:5], 1, v[6:7]
	v_add_co_u32_e32 v0, vcc, v0, v4
	v_addc_co_u32_e32 v1, vcc, v1, v5, vcc
	s_waitcnt lgkmcnt(0)
	v_mov_b32_e32 v4, s21
	v_add_co_u32_e32 v0, vcc, s20, v0
	v_addc_co_u32_e32 v1, vcc, v4, v1, vcc
	v_mad_u64_u32 v[4:5], s[8:9], s6, v14, 0
	v_mov_b32_e32 v6, v5
	v_mad_u64_u32 v[6:7], s[8:9], s7, v14, v[6:7]
	v_mov_b32_e32 v5, v6
	v_lshlrev_b64 v[4:5], 1, v[4:5]
	v_lshlrev_b64 v[6:7], 1, v[8:9]
	v_add_co_u32_e32 v4, vcc, v4, v6
	v_addc_co_u32_e32 v5, vcc, v5, v7, vcc
	s_lshl_b64 s[4:5], s[4:5], 4
	v_mov_b32_e32 v6, s23
	v_add_co_u32_e32 v4, vcc, s22, v4
	s_lshl_b64 s[8:9], s[6:7], 4
	v_addc_co_u32_e32 v5, vcc, v6, v5, vcc
	s_mov_b64 s[6:7], 0
	v_mov_b32_e32 v14, 0
	v_mov_b32_e32 v6, s5
	;; [unrolled: 1-line block ×4, first 2 shown]
.LBB2_25:                               ; =>This Inner Loop Header: Depth=1
	global_load_ushort v9, v[0:1], off
	global_load_ushort v15, v[4:5], off
	v_add_co_u32_e32 v0, vcc, s4, v0
	v_addc_co_u32_e32 v1, vcc, v1, v6, vcc
	v_add_co_u32_e32 v4, vcc, s8, v4
	v_add_u32_e32 v8, 8, v8
	v_addc_co_u32_e32 v5, vcc, v5, v7, vcc
	v_cmp_le_i32_e32 vcc, s10, v8
	s_or_b64 s[6:7], vcc, s[6:7]
	s_waitcnt vmcnt(0)
	v_fma_f16 v14, v9, v15, v14
	s_andn2_b64 exec, exec, s[6:7]
	s_cbranch_execnz .LBB2_25
; %bb.26:
	s_or_b64 exec, exec, s[6:7]
.LBB2_27:
	s_or_b64 exec, exec, s[2:3]
	v_lshlrev_b32_e32 v0, 1, v13
	v_lshl_or_b32 v0, v12, 4, v0
	v_cmp_gt_u32_e32 vcc, 4, v13
	ds_write_b16 v0, v14
	s_waitcnt lgkmcnt(0)
	s_barrier
	s_and_saveexec_b64 s[2:3], vcc
	s_cbranch_execz .LBB2_29
; %bb.28:
	ds_read_u16 v1, v0
	ds_read_u16 v4, v0 offset:8
	s_waitcnt lgkmcnt(0)
	v_add_f16_e32 v1, v4, v1
	ds_write_b16 v0, v1
.LBB2_29:
	s_or_b64 exec, exec, s[2:3]
	v_cmp_gt_u32_e32 vcc, 2, v13
	s_waitcnt lgkmcnt(0)
	s_barrier
	s_and_saveexec_b64 s[2:3], vcc
	s_cbranch_execz .LBB2_31
; %bb.30:
	ds_read_u16 v1, v0
	ds_read_u16 v4, v0 offset:4
	s_waitcnt lgkmcnt(0)
	v_add_f16_e32 v1, v4, v1
	ds_write_b16 v0, v1
.LBB2_31:
	s_or_b64 exec, exec, s[2:3]
	v_cmp_eq_u32_e32 vcc, 0, v13
	v_lshlrev_b32_e32 v1, 4, v12
	s_waitcnt lgkmcnt(0)
	s_barrier
	s_and_saveexec_b64 s[2:3], vcc
	s_cbranch_execz .LBB2_33
; %bb.32:
	ds_read_u16 v4, v1 offset:2
	ds_read_u16 v5, v0
	s_waitcnt lgkmcnt(0)
	v_add_f16_e32 v4, v4, v5
	ds_write_b16 v0, v4
.LBB2_33:
	s_or_b64 exec, exec, s[2:3]
	s_waitcnt lgkmcnt(0)
	s_barrier
	s_and_b64 exec, exec, vcc
	s_cbranch_execz .LBB2_35
; %bb.34:
	v_lshlrev_b64 v[2:3], 1, v[2:3]
	v_mov_b32_e32 v0, s1
	v_add_co_u32_e32 v2, vcc, s0, v2
	v_addc_co_u32_e32 v3, vcc, v0, v3, vcc
	global_load_ushort v0, v[2:3], off
	ds_read_u16 v1, v1
	s_waitcnt lgkmcnt(0)
	v_mul_f16_e32 v1, v10, v1
	s_waitcnt vmcnt(0)
	v_fma_f16 v0, v11, v0, v1
	global_store_short v[2:3], v0, off
.LBB2_35:
	s_endpgm
	.section	.rodata,"a",@progbits
	.p2align	6, 0x0
	.amdhsa_kernel _ZN9rocsparseL16sddmm_ell_kernelILi512ELi8EDF16_iiDF16_DF16_DF16_EEv20rocsparse_operation_S1_16rocsparse_order_S2_T3_S3_S3_T2_NS_24const_host_device_scalarIT1_EEPKT4_lPKT5_lS7_PT6_PKS3_21rocsparse_index_base_b
		.amdhsa_group_segment_fixed_size 1024
		.amdhsa_private_segment_fixed_size 0
		.amdhsa_kernarg_size 104
		.amdhsa_user_sgpr_count 6
		.amdhsa_user_sgpr_private_segment_buffer 1
		.amdhsa_user_sgpr_dispatch_ptr 0
		.amdhsa_user_sgpr_queue_ptr 0
		.amdhsa_user_sgpr_kernarg_segment_ptr 1
		.amdhsa_user_sgpr_dispatch_id 0
		.amdhsa_user_sgpr_flat_scratch_init 0
		.amdhsa_user_sgpr_kernarg_preload_length 0
		.amdhsa_user_sgpr_kernarg_preload_offset 0
		.amdhsa_user_sgpr_private_segment_size 0
		.amdhsa_uses_dynamic_stack 0
		.amdhsa_system_sgpr_private_segment_wavefront_offset 0
		.amdhsa_system_sgpr_workgroup_id_x 1
		.amdhsa_system_sgpr_workgroup_id_y 0
		.amdhsa_system_sgpr_workgroup_id_z 0
		.amdhsa_system_sgpr_workgroup_info 0
		.amdhsa_system_vgpr_workitem_id 0
		.amdhsa_next_free_vgpr 16
		.amdhsa_next_free_sgpr 24
		.amdhsa_accum_offset 16
		.amdhsa_reserve_vcc 1
		.amdhsa_reserve_flat_scratch 0
		.amdhsa_float_round_mode_32 0
		.amdhsa_float_round_mode_16_64 0
		.amdhsa_float_denorm_mode_32 3
		.amdhsa_float_denorm_mode_16_64 3
		.amdhsa_dx10_clamp 1
		.amdhsa_ieee_mode 1
		.amdhsa_fp16_overflow 0
		.amdhsa_tg_split 0
		.amdhsa_exception_fp_ieee_invalid_op 0
		.amdhsa_exception_fp_denorm_src 0
		.amdhsa_exception_fp_ieee_div_zero 0
		.amdhsa_exception_fp_ieee_overflow 0
		.amdhsa_exception_fp_ieee_underflow 0
		.amdhsa_exception_fp_ieee_inexact 0
		.amdhsa_exception_int_div_zero 0
	.end_amdhsa_kernel
	.section	.text._ZN9rocsparseL16sddmm_ell_kernelILi512ELi8EDF16_iiDF16_DF16_DF16_EEv20rocsparse_operation_S1_16rocsparse_order_S2_T3_S3_S3_T2_NS_24const_host_device_scalarIT1_EEPKT4_lPKT5_lS7_PT6_PKS3_21rocsparse_index_base_b,"axG",@progbits,_ZN9rocsparseL16sddmm_ell_kernelILi512ELi8EDF16_iiDF16_DF16_DF16_EEv20rocsparse_operation_S1_16rocsparse_order_S2_T3_S3_S3_T2_NS_24const_host_device_scalarIT1_EEPKT4_lPKT5_lS7_PT6_PKS3_21rocsparse_index_base_b,comdat
.Lfunc_end2:
	.size	_ZN9rocsparseL16sddmm_ell_kernelILi512ELi8EDF16_iiDF16_DF16_DF16_EEv20rocsparse_operation_S1_16rocsparse_order_S2_T3_S3_S3_T2_NS_24const_host_device_scalarIT1_EEPKT4_lPKT5_lS7_PT6_PKS3_21rocsparse_index_base_b, .Lfunc_end2-_ZN9rocsparseL16sddmm_ell_kernelILi512ELi8EDF16_iiDF16_DF16_DF16_EEv20rocsparse_operation_S1_16rocsparse_order_S2_T3_S3_S3_T2_NS_24const_host_device_scalarIT1_EEPKT4_lPKT5_lS7_PT6_PKS3_21rocsparse_index_base_b
                                        ; -- End function
	.section	.AMDGPU.csdata,"",@progbits
; Kernel info:
; codeLenInByte = 1204
; NumSgprs: 28
; NumVgprs: 16
; NumAgprs: 0
; TotalNumVgprs: 16
; ScratchSize: 0
; MemoryBound: 0
; FloatMode: 240
; IeeeMode: 1
; LDSByteSize: 1024 bytes/workgroup (compile time only)
; SGPRBlocks: 3
; VGPRBlocks: 1
; NumSGPRsForWavesPerEU: 28
; NumVGPRsForWavesPerEU: 16
; AccumOffset: 16
; Occupancy: 8
; WaveLimiterHint : 0
; COMPUTE_PGM_RSRC2:SCRATCH_EN: 0
; COMPUTE_PGM_RSRC2:USER_SGPR: 6
; COMPUTE_PGM_RSRC2:TRAP_HANDLER: 0
; COMPUTE_PGM_RSRC2:TGID_X_EN: 1
; COMPUTE_PGM_RSRC2:TGID_Y_EN: 0
; COMPUTE_PGM_RSRC2:TGID_Z_EN: 0
; COMPUTE_PGM_RSRC2:TIDIG_COMP_CNT: 0
; COMPUTE_PGM_RSRC3_GFX90A:ACCUM_OFFSET: 3
; COMPUTE_PGM_RSRC3_GFX90A:TG_SPLIT: 0
	.section	.text._ZN9rocsparseL16sddmm_ell_kernelILi512ELi4EDF16_iiDF16_DF16_DF16_EEv20rocsparse_operation_S1_16rocsparse_order_S2_T3_S3_S3_T2_NS_24const_host_device_scalarIT1_EEPKT4_lPKT5_lS7_PT6_PKS3_21rocsparse_index_base_b,"axG",@progbits,_ZN9rocsparseL16sddmm_ell_kernelILi512ELi4EDF16_iiDF16_DF16_DF16_EEv20rocsparse_operation_S1_16rocsparse_order_S2_T3_S3_S3_T2_NS_24const_host_device_scalarIT1_EEPKT4_lPKT5_lS7_PT6_PKS3_21rocsparse_index_base_b,comdat
	.globl	_ZN9rocsparseL16sddmm_ell_kernelILi512ELi4EDF16_iiDF16_DF16_DF16_EEv20rocsparse_operation_S1_16rocsparse_order_S2_T3_S3_S3_T2_NS_24const_host_device_scalarIT1_EEPKT4_lPKT5_lS7_PT6_PKS3_21rocsparse_index_base_b ; -- Begin function _ZN9rocsparseL16sddmm_ell_kernelILi512ELi4EDF16_iiDF16_DF16_DF16_EEv20rocsparse_operation_S1_16rocsparse_order_S2_T3_S3_S3_T2_NS_24const_host_device_scalarIT1_EEPKT4_lPKT5_lS7_PT6_PKS3_21rocsparse_index_base_b
	.p2align	8
	.type	_ZN9rocsparseL16sddmm_ell_kernelILi512ELi4EDF16_iiDF16_DF16_DF16_EEv20rocsparse_operation_S1_16rocsparse_order_S2_T3_S3_S3_T2_NS_24const_host_device_scalarIT1_EEPKT4_lPKT5_lS7_PT6_PKS3_21rocsparse_index_base_b,@function
_ZN9rocsparseL16sddmm_ell_kernelILi512ELi4EDF16_iiDF16_DF16_DF16_EEv20rocsparse_operation_S1_16rocsparse_order_S2_T3_S3_S3_T2_NS_24const_host_device_scalarIT1_EEPKT4_lPKT5_lS7_PT6_PKS3_21rocsparse_index_base_b: ; @_ZN9rocsparseL16sddmm_ell_kernelILi512ELi4EDF16_iiDF16_DF16_DF16_EEv20rocsparse_operation_S1_16rocsparse_order_S2_T3_S3_S3_T2_NS_24const_host_device_scalarIT1_EEPKT4_lPKT5_lS7_PT6_PKS3_21rocsparse_index_base_b
; %bb.0:
	s_load_dwordx2 s[2:3], s[4:5], 0x60
	s_load_dwordx2 s[12:13], s[4:5], 0x20
	s_load_dwordx4 s[8:11], s[4:5], 0x40
	s_waitcnt lgkmcnt(0)
	s_bitcmp1_b32 s3, 0
	s_cselect_b64 s[14:15], -1, 0
	s_xor_b64 s[0:1], s[14:15], -1
	s_and_b64 vcc, exec, s[14:15]
	v_mov_b32_e32 v10, s12
	s_cbranch_vccnz .LBB3_2
; %bb.1:
	v_mov_b32_e32 v1, 0
	global_load_ushort v10, v1, s[12:13]
.LBB3_2:
	s_andn2_b64 vcc, exec, s[0:1]
	v_mov_b32_e32 v11, s10
	s_cbranch_vccnz .LBB3_4
; %bb.3:
	v_mov_b32_e32 v1, 0
	global_load_ushort v11, v1, s[10:11]
.LBB3_4:
	s_waitcnt vmcnt(0)
	v_cmp_eq_f16_e32 vcc, 0, v10
	v_cmp_eq_f16_e64 s[0:1], 1.0, v11
	s_and_b64 s[0:1], vcc, s[0:1]
	s_and_b64 vcc, exec, s[0:1]
	s_cbranch_vccnz .LBB3_33
; %bb.5:
	s_load_dwordx2 s[10:11], s[4:5], 0x18
	v_lshrrev_b32_e32 v12, 2, v0
	v_lshl_or_b32 v2, s6, 7, v12
	s_waitcnt lgkmcnt(0)
	v_cmp_gt_i32_e32 vcc, s11, v2
	s_and_saveexec_b64 s[0:1], vcc
	s_cbranch_execz .LBB3_33
; %bb.6:
	s_load_dwordx2 s[0:1], s[4:5], 0x58
	v_ashrrev_i32_e32 v3, 31, v2
	v_lshlrev_b64 v[4:5], 2, v[2:3]
	s_waitcnt lgkmcnt(0)
	v_mov_b32_e32 v1, s1
	v_add_co_u32_e32 v4, vcc, s0, v4
	v_addc_co_u32_e32 v5, vcc, v1, v5, vcc
	global_load_dword v1, v[4:5], off
	s_waitcnt vmcnt(0)
	v_subrev_u32_e32 v4, s2, v1
	v_cmp_lt_i32_e32 vcc, -1, v4
	s_and_b64 exec, exec, vcc
	s_cbranch_execz .LBB3_33
; %bb.7:
	s_load_dwordx4 s[0:3], s[4:5], 0x0
	s_load_dword s11, s[4:5], 0x10
	v_sub_u32_e32 v5, 0, v2
	v_max_i32_e32 v5, v2, v5
	s_load_dwordx2 s[14:15], s[4:5], 0x30
	s_waitcnt lgkmcnt(0)
	s_cmp_eq_u32 s2, 1
	s_cselect_b64 s[6:7], -1, 0
	s_cmpk_eq_i32 s0, 0x6f
	s_cselect_b64 s[12:13], -1, 0
	s_cmpk_lg_i32 s0, 0x6f
	s_cselect_b64 s[16:17], -1, 0
	s_abs_i32 s0, s11
	v_cvt_f32_u32_e32 v1, s0
	s_sub_i32 s11, 0, s0
	s_cmp_lg_u32 s2, 1
	v_rcp_iflag_f32_e32 v1, v1
	v_mul_f32_e32 v1, 0x4f7ffffe, v1
	v_cvt_u32_f32_e32 v1, v1
	v_mul_lo_u32 v6, s11, v1
	v_mul_hi_u32 v6, v1, v6
	v_add_u32_e32 v1, v1, v6
	v_mul_hi_u32 v1, v5, v1
	v_mul_lo_u32 v1, v1, s0
	v_sub_u32_e32 v1, v5, v1
	v_subrev_u32_e32 v5, s0, v1
	v_cmp_le_u32_e32 vcc, s0, v1
	v_cndmask_b32_e32 v1, v1, v5, vcc
	v_subrev_u32_e32 v5, s0, v1
	v_cmp_le_u32_e32 vcc, s0, v1
	v_cndmask_b32_e32 v1, v1, v5, vcc
	v_xor_b32_e32 v1, v1, v3
	v_sub_u32_e32 v8, v1, v3
	v_ashrrev_i32_e32 v9, 31, v8
	s_cbranch_scc0 .LBB3_11
; %bb.8:
	s_andn2_b64 vcc, exec, s[12:13]
	v_pk_mov_b32 v[6:7], v[8:9], v[8:9] op_sel:[0,1]
	s_cbranch_vccnz .LBB3_10
; %bb.9:
	v_mul_lo_u32 v1, v9, s14
	v_mul_lo_u32 v5, v8, s15
	v_mad_u64_u32 v[6:7], s[18:19], v8, s14, 0
	v_add3_u32 v7, v7, v5, v1
.LBB3_10:
	s_cbranch_execz .LBB3_12
	s_branch .LBB3_15
.LBB3_11:
                                        ; implicit-def: $vgpr6_vgpr7
.LBB3_12:
	s_andn2_b64 vcc, exec, s[16:17]
	s_cbranch_vccnz .LBB3_14
; %bb.13:
	v_mul_lo_u32 v1, v9, s14
	v_mul_lo_u32 v5, v8, s15
	v_mad_u64_u32 v[8:9], s[16:17], v8, s14, 0
	v_add3_u32 v9, v9, v5, v1
.LBB3_14:
	v_pk_mov_b32 v[6:7], v[8:9], v[8:9] op_sel:[0,1]
.LBB3_15:
	s_cmp_eq_u32 s3, 1
	s_cselect_b64 s[16:17], -1, 0
	s_cmpk_eq_i32 s1, 0x6f
	s_cselect_b64 s[18:19], -1, 0
	s_cmpk_lg_i32 s1, 0x6f
	s_cselect_b64 s[0:1], -1, 0
	s_cmp_lg_u32 s3, 1
	v_mov_b32_e32 v5, 0
	s_cbranch_scc0 .LBB3_19
; %bb.16:
	s_andn2_b64 vcc, exec, s[0:1]
	v_pk_mov_b32 v[8:9], v[4:5], v[4:5] op_sel:[0,1]
	s_cbranch_vccnz .LBB3_18
; %bb.17:
	v_mad_u64_u32 v[8:9], s[0:1], v4, s8, 0
	v_mov_b32_e32 v14, v9
	v_mad_u64_u32 v[14:15], s[0:1], v4, s9, v[14:15]
	v_mov_b32_e32 v9, v14
.LBB3_18:
	s_cbranch_execz .LBB3_20
	s_branch .LBB3_23
.LBB3_19:
                                        ; implicit-def: $vgpr8_vgpr9
.LBB3_20:
	s_andn2_b64 vcc, exec, s[18:19]
	s_cbranch_vccnz .LBB3_22
; %bb.21:
	v_mad_u64_u32 v[8:9], s[0:1], v4, s8, 0
	v_mov_b32_e32 v14, v9
	v_mad_u64_u32 v[4:5], s[0:1], v4, s9, v[14:15]
	v_mov_b32_e32 v9, v4
	v_pk_mov_b32 v[4:5], v[8:9], v[8:9] op_sel:[0,1]
.LBB3_22:
	v_pk_mov_b32 v[8:9], v[4:5], v[4:5] op_sel:[0,1]
.LBB3_23:
	s_load_dwordx2 s[0:1], s[4:5], 0x50
	v_and_b32_e32 v13, 3, v0
	v_cmp_gt_i32_e32 vcc, s10, v13
	v_mov_b32_e32 v14, 0
	s_and_saveexec_b64 s[2:3], vcc
	s_cbranch_execz .LBB3_27
; %bb.24:
	s_load_dwordx2 s[20:21], s[4:5], 0x28
	s_load_dwordx2 s[22:23], s[4:5], 0x38
	s_xor_b64 s[4:5], s[12:13], s[6:7]
	s_and_b64 s[4:5], s[4:5], exec
	s_cselect_b32 s5, 0, s15
	s_cselect_b32 s4, 1, s14
	s_xor_b64 s[6:7], s[18:19], s[16:17]
	s_and_b64 s[6:7], s[6:7], exec
	v_and_b32_e32 v14, 3, v0
	s_cselect_b32 s7, s9, 0
	s_cselect_b32 s6, s8, 1
	v_mad_u64_u32 v[0:1], s[8:9], s4, v14, 0
	v_mov_b32_e32 v4, v1
	v_mad_u64_u32 v[4:5], s[8:9], s5, v14, v[4:5]
	v_mov_b32_e32 v1, v4
	v_lshlrev_b64 v[0:1], 1, v[0:1]
	v_lshlrev_b64 v[4:5], 1, v[6:7]
	v_add_co_u32_e32 v0, vcc, v0, v4
	v_addc_co_u32_e32 v1, vcc, v1, v5, vcc
	s_waitcnt lgkmcnt(0)
	v_mov_b32_e32 v4, s21
	v_add_co_u32_e32 v0, vcc, s20, v0
	v_addc_co_u32_e32 v1, vcc, v4, v1, vcc
	v_mad_u64_u32 v[4:5], s[8:9], s6, v14, 0
	v_mov_b32_e32 v6, v5
	v_mad_u64_u32 v[6:7], s[8:9], s7, v14, v[6:7]
	v_mov_b32_e32 v5, v6
	v_lshlrev_b64 v[4:5], 1, v[4:5]
	v_lshlrev_b64 v[6:7], 1, v[8:9]
	v_add_co_u32_e32 v4, vcc, v4, v6
	v_addc_co_u32_e32 v5, vcc, v5, v7, vcc
	s_lshl_b64 s[4:5], s[4:5], 3
	v_mov_b32_e32 v6, s23
	v_add_co_u32_e32 v4, vcc, s22, v4
	s_lshl_b64 s[8:9], s[6:7], 3
	v_addc_co_u32_e32 v5, vcc, v6, v5, vcc
	s_mov_b64 s[6:7], 0
	v_mov_b32_e32 v14, 0
	v_mov_b32_e32 v6, s5
	;; [unrolled: 1-line block ×4, first 2 shown]
.LBB3_25:                               ; =>This Inner Loop Header: Depth=1
	global_load_ushort v9, v[0:1], off
	global_load_ushort v15, v[4:5], off
	v_add_co_u32_e32 v0, vcc, s4, v0
	v_addc_co_u32_e32 v1, vcc, v1, v6, vcc
	v_add_co_u32_e32 v4, vcc, s8, v4
	v_add_u32_e32 v8, 4, v8
	v_addc_co_u32_e32 v5, vcc, v5, v7, vcc
	v_cmp_le_i32_e32 vcc, s10, v8
	s_or_b64 s[6:7], vcc, s[6:7]
	s_waitcnt vmcnt(0)
	v_fma_f16 v14, v9, v15, v14
	s_andn2_b64 exec, exec, s[6:7]
	s_cbranch_execnz .LBB3_25
; %bb.26:
	s_or_b64 exec, exec, s[6:7]
.LBB3_27:
	s_or_b64 exec, exec, s[2:3]
	v_lshlrev_b32_e32 v0, 1, v13
	v_lshl_or_b32 v0, v12, 3, v0
	v_cmp_gt_u32_e32 vcc, 2, v13
	ds_write_b16 v0, v14
	s_waitcnt lgkmcnt(0)
	s_barrier
	s_and_saveexec_b64 s[2:3], vcc
	s_cbranch_execz .LBB3_29
; %bb.28:
	ds_read_u16 v1, v0
	ds_read_u16 v4, v0 offset:4
	s_waitcnt lgkmcnt(0)
	v_add_f16_e32 v1, v4, v1
	ds_write_b16 v0, v1
.LBB3_29:
	s_or_b64 exec, exec, s[2:3]
	v_cmp_eq_u32_e32 vcc, 0, v13
	v_lshlrev_b32_e32 v1, 3, v12
	s_waitcnt lgkmcnt(0)
	s_barrier
	s_and_saveexec_b64 s[2:3], vcc
	s_cbranch_execz .LBB3_31
; %bb.30:
	ds_read_u16 v4, v1 offset:2
	ds_read_u16 v5, v0
	s_waitcnt lgkmcnt(0)
	v_add_f16_e32 v4, v4, v5
	ds_write_b16 v0, v4
.LBB3_31:
	s_or_b64 exec, exec, s[2:3]
	s_waitcnt lgkmcnt(0)
	s_barrier
	s_and_b64 exec, exec, vcc
	s_cbranch_execz .LBB3_33
; %bb.32:
	v_lshlrev_b64 v[2:3], 1, v[2:3]
	v_mov_b32_e32 v0, s1
	v_add_co_u32_e32 v2, vcc, s0, v2
	v_addc_co_u32_e32 v3, vcc, v0, v3, vcc
	global_load_ushort v0, v[2:3], off
	ds_read_u16 v1, v1
	s_waitcnt lgkmcnt(0)
	v_mul_f16_e32 v1, v10, v1
	s_waitcnt vmcnt(0)
	v_fma_f16 v0, v11, v0, v1
	global_store_short v[2:3], v0, off
.LBB3_33:
	s_endpgm
	.section	.rodata,"a",@progbits
	.p2align	6, 0x0
	.amdhsa_kernel _ZN9rocsparseL16sddmm_ell_kernelILi512ELi4EDF16_iiDF16_DF16_DF16_EEv20rocsparse_operation_S1_16rocsparse_order_S2_T3_S3_S3_T2_NS_24const_host_device_scalarIT1_EEPKT4_lPKT5_lS7_PT6_PKS3_21rocsparse_index_base_b
		.amdhsa_group_segment_fixed_size 1024
		.amdhsa_private_segment_fixed_size 0
		.amdhsa_kernarg_size 104
		.amdhsa_user_sgpr_count 6
		.amdhsa_user_sgpr_private_segment_buffer 1
		.amdhsa_user_sgpr_dispatch_ptr 0
		.amdhsa_user_sgpr_queue_ptr 0
		.amdhsa_user_sgpr_kernarg_segment_ptr 1
		.amdhsa_user_sgpr_dispatch_id 0
		.amdhsa_user_sgpr_flat_scratch_init 0
		.amdhsa_user_sgpr_kernarg_preload_length 0
		.amdhsa_user_sgpr_kernarg_preload_offset 0
		.amdhsa_user_sgpr_private_segment_size 0
		.amdhsa_uses_dynamic_stack 0
		.amdhsa_system_sgpr_private_segment_wavefront_offset 0
		.amdhsa_system_sgpr_workgroup_id_x 1
		.amdhsa_system_sgpr_workgroup_id_y 0
		.amdhsa_system_sgpr_workgroup_id_z 0
		.amdhsa_system_sgpr_workgroup_info 0
		.amdhsa_system_vgpr_workitem_id 0
		.amdhsa_next_free_vgpr 16
		.amdhsa_next_free_sgpr 24
		.amdhsa_accum_offset 16
		.amdhsa_reserve_vcc 1
		.amdhsa_reserve_flat_scratch 0
		.amdhsa_float_round_mode_32 0
		.amdhsa_float_round_mode_16_64 0
		.amdhsa_float_denorm_mode_32 3
		.amdhsa_float_denorm_mode_16_64 3
		.amdhsa_dx10_clamp 1
		.amdhsa_ieee_mode 1
		.amdhsa_fp16_overflow 0
		.amdhsa_tg_split 0
		.amdhsa_exception_fp_ieee_invalid_op 0
		.amdhsa_exception_fp_denorm_src 0
		.amdhsa_exception_fp_ieee_div_zero 0
		.amdhsa_exception_fp_ieee_overflow 0
		.amdhsa_exception_fp_ieee_underflow 0
		.amdhsa_exception_fp_ieee_inexact 0
		.amdhsa_exception_int_div_zero 0
	.end_amdhsa_kernel
	.section	.text._ZN9rocsparseL16sddmm_ell_kernelILi512ELi4EDF16_iiDF16_DF16_DF16_EEv20rocsparse_operation_S1_16rocsparse_order_S2_T3_S3_S3_T2_NS_24const_host_device_scalarIT1_EEPKT4_lPKT5_lS7_PT6_PKS3_21rocsparse_index_base_b,"axG",@progbits,_ZN9rocsparseL16sddmm_ell_kernelILi512ELi4EDF16_iiDF16_DF16_DF16_EEv20rocsparse_operation_S1_16rocsparse_order_S2_T3_S3_S3_T2_NS_24const_host_device_scalarIT1_EEPKT4_lPKT5_lS7_PT6_PKS3_21rocsparse_index_base_b,comdat
.Lfunc_end3:
	.size	_ZN9rocsparseL16sddmm_ell_kernelILi512ELi4EDF16_iiDF16_DF16_DF16_EEv20rocsparse_operation_S1_16rocsparse_order_S2_T3_S3_S3_T2_NS_24const_host_device_scalarIT1_EEPKT4_lPKT5_lS7_PT6_PKS3_21rocsparse_index_base_b, .Lfunc_end3-_ZN9rocsparseL16sddmm_ell_kernelILi512ELi4EDF16_iiDF16_DF16_DF16_EEv20rocsparse_operation_S1_16rocsparse_order_S2_T3_S3_S3_T2_NS_24const_host_device_scalarIT1_EEPKT4_lPKT5_lS7_PT6_PKS3_21rocsparse_index_base_b
                                        ; -- End function
	.section	.AMDGPU.csdata,"",@progbits
; Kernel info:
; codeLenInByte = 1148
; NumSgprs: 28
; NumVgprs: 16
; NumAgprs: 0
; TotalNumVgprs: 16
; ScratchSize: 0
; MemoryBound: 0
; FloatMode: 240
; IeeeMode: 1
; LDSByteSize: 1024 bytes/workgroup (compile time only)
; SGPRBlocks: 3
; VGPRBlocks: 1
; NumSGPRsForWavesPerEU: 28
; NumVGPRsForWavesPerEU: 16
; AccumOffset: 16
; Occupancy: 8
; WaveLimiterHint : 0
; COMPUTE_PGM_RSRC2:SCRATCH_EN: 0
; COMPUTE_PGM_RSRC2:USER_SGPR: 6
; COMPUTE_PGM_RSRC2:TRAP_HANDLER: 0
; COMPUTE_PGM_RSRC2:TGID_X_EN: 1
; COMPUTE_PGM_RSRC2:TGID_Y_EN: 0
; COMPUTE_PGM_RSRC2:TGID_Z_EN: 0
; COMPUTE_PGM_RSRC2:TIDIG_COMP_CNT: 0
; COMPUTE_PGM_RSRC3_GFX90A:ACCUM_OFFSET: 3
; COMPUTE_PGM_RSRC3_GFX90A:TG_SPLIT: 0
	.section	.text._ZN9rocsparseL16sddmm_ell_kernelILi512ELi2EDF16_iiDF16_DF16_DF16_EEv20rocsparse_operation_S1_16rocsparse_order_S2_T3_S3_S3_T2_NS_24const_host_device_scalarIT1_EEPKT4_lPKT5_lS7_PT6_PKS3_21rocsparse_index_base_b,"axG",@progbits,_ZN9rocsparseL16sddmm_ell_kernelILi512ELi2EDF16_iiDF16_DF16_DF16_EEv20rocsparse_operation_S1_16rocsparse_order_S2_T3_S3_S3_T2_NS_24const_host_device_scalarIT1_EEPKT4_lPKT5_lS7_PT6_PKS3_21rocsparse_index_base_b,comdat
	.globl	_ZN9rocsparseL16sddmm_ell_kernelILi512ELi2EDF16_iiDF16_DF16_DF16_EEv20rocsparse_operation_S1_16rocsparse_order_S2_T3_S3_S3_T2_NS_24const_host_device_scalarIT1_EEPKT4_lPKT5_lS7_PT6_PKS3_21rocsparse_index_base_b ; -- Begin function _ZN9rocsparseL16sddmm_ell_kernelILi512ELi2EDF16_iiDF16_DF16_DF16_EEv20rocsparse_operation_S1_16rocsparse_order_S2_T3_S3_S3_T2_NS_24const_host_device_scalarIT1_EEPKT4_lPKT5_lS7_PT6_PKS3_21rocsparse_index_base_b
	.p2align	8
	.type	_ZN9rocsparseL16sddmm_ell_kernelILi512ELi2EDF16_iiDF16_DF16_DF16_EEv20rocsparse_operation_S1_16rocsparse_order_S2_T3_S3_S3_T2_NS_24const_host_device_scalarIT1_EEPKT4_lPKT5_lS7_PT6_PKS3_21rocsparse_index_base_b,@function
_ZN9rocsparseL16sddmm_ell_kernelILi512ELi2EDF16_iiDF16_DF16_DF16_EEv20rocsparse_operation_S1_16rocsparse_order_S2_T3_S3_S3_T2_NS_24const_host_device_scalarIT1_EEPKT4_lPKT5_lS7_PT6_PKS3_21rocsparse_index_base_b: ; @_ZN9rocsparseL16sddmm_ell_kernelILi512ELi2EDF16_iiDF16_DF16_DF16_EEv20rocsparse_operation_S1_16rocsparse_order_S2_T3_S3_S3_T2_NS_24const_host_device_scalarIT1_EEPKT4_lPKT5_lS7_PT6_PKS3_21rocsparse_index_base_b
; %bb.0:
	s_load_dwordx2 s[2:3], s[4:5], 0x60
	s_load_dwordx2 s[12:13], s[4:5], 0x20
	s_load_dwordx4 s[8:11], s[4:5], 0x40
	s_waitcnt lgkmcnt(0)
	s_bitcmp1_b32 s3, 0
	s_cselect_b64 s[14:15], -1, 0
	s_xor_b64 s[0:1], s[14:15], -1
	s_and_b64 vcc, exec, s[14:15]
	v_mov_b32_e32 v10, s12
	s_cbranch_vccnz .LBB4_2
; %bb.1:
	v_mov_b32_e32 v1, 0
	global_load_ushort v10, v1, s[12:13]
.LBB4_2:
	s_andn2_b64 vcc, exec, s[0:1]
	v_mov_b32_e32 v11, s10
	s_cbranch_vccnz .LBB4_4
; %bb.3:
	v_mov_b32_e32 v1, 0
	global_load_ushort v11, v1, s[10:11]
.LBB4_4:
	s_waitcnt vmcnt(0)
	v_cmp_eq_f16_e32 vcc, 0, v10
	v_cmp_eq_f16_e64 s[0:1], 1.0, v11
	s_and_b64 s[0:1], vcc, s[0:1]
	s_and_b64 vcc, exec, s[0:1]
	s_cbranch_vccnz .LBB4_31
; %bb.5:
	s_load_dwordx2 s[10:11], s[4:5], 0x18
	v_lshrrev_b32_e32 v12, 1, v0
	v_lshl_or_b32 v2, s6, 8, v12
	s_waitcnt lgkmcnt(0)
	v_cmp_gt_i32_e32 vcc, s11, v2
	s_and_saveexec_b64 s[0:1], vcc
	s_cbranch_execz .LBB4_31
; %bb.6:
	s_load_dwordx2 s[0:1], s[4:5], 0x58
	v_ashrrev_i32_e32 v3, 31, v2
	v_lshlrev_b64 v[4:5], 2, v[2:3]
	s_waitcnt lgkmcnt(0)
	v_mov_b32_e32 v1, s1
	v_add_co_u32_e32 v4, vcc, s0, v4
	v_addc_co_u32_e32 v5, vcc, v1, v5, vcc
	global_load_dword v1, v[4:5], off
	s_waitcnt vmcnt(0)
	v_subrev_u32_e32 v4, s2, v1
	v_cmp_lt_i32_e32 vcc, -1, v4
	s_and_b64 exec, exec, vcc
	s_cbranch_execz .LBB4_31
; %bb.7:
	s_load_dwordx4 s[0:3], s[4:5], 0x0
	s_load_dword s11, s[4:5], 0x10
	v_sub_u32_e32 v5, 0, v2
	v_max_i32_e32 v5, v2, v5
	s_load_dwordx2 s[14:15], s[4:5], 0x30
	s_waitcnt lgkmcnt(0)
	s_cmp_eq_u32 s2, 1
	s_cselect_b64 s[6:7], -1, 0
	s_cmpk_eq_i32 s0, 0x6f
	s_cselect_b64 s[12:13], -1, 0
	s_cmpk_lg_i32 s0, 0x6f
	s_cselect_b64 s[16:17], -1, 0
	s_abs_i32 s0, s11
	v_cvt_f32_u32_e32 v1, s0
	s_sub_i32 s11, 0, s0
	s_cmp_lg_u32 s2, 1
	v_rcp_iflag_f32_e32 v1, v1
	v_mul_f32_e32 v1, 0x4f7ffffe, v1
	v_cvt_u32_f32_e32 v1, v1
	v_mul_lo_u32 v6, s11, v1
	v_mul_hi_u32 v6, v1, v6
	v_add_u32_e32 v1, v1, v6
	v_mul_hi_u32 v1, v5, v1
	v_mul_lo_u32 v1, v1, s0
	v_sub_u32_e32 v1, v5, v1
	v_subrev_u32_e32 v5, s0, v1
	v_cmp_le_u32_e32 vcc, s0, v1
	v_cndmask_b32_e32 v1, v1, v5, vcc
	v_subrev_u32_e32 v5, s0, v1
	v_cmp_le_u32_e32 vcc, s0, v1
	v_cndmask_b32_e32 v1, v1, v5, vcc
	v_xor_b32_e32 v1, v1, v3
	v_sub_u32_e32 v8, v1, v3
	v_ashrrev_i32_e32 v9, 31, v8
	s_cbranch_scc0 .LBB4_11
; %bb.8:
	s_andn2_b64 vcc, exec, s[12:13]
	v_pk_mov_b32 v[6:7], v[8:9], v[8:9] op_sel:[0,1]
	s_cbranch_vccnz .LBB4_10
; %bb.9:
	v_mul_lo_u32 v1, v9, s14
	v_mul_lo_u32 v5, v8, s15
	v_mad_u64_u32 v[6:7], s[18:19], v8, s14, 0
	v_add3_u32 v7, v7, v5, v1
.LBB4_10:
	s_cbranch_execz .LBB4_12
	s_branch .LBB4_15
.LBB4_11:
                                        ; implicit-def: $vgpr6_vgpr7
.LBB4_12:
	s_andn2_b64 vcc, exec, s[16:17]
	s_cbranch_vccnz .LBB4_14
; %bb.13:
	v_mul_lo_u32 v1, v9, s14
	v_mul_lo_u32 v5, v8, s15
	v_mad_u64_u32 v[8:9], s[16:17], v8, s14, 0
	v_add3_u32 v9, v9, v5, v1
.LBB4_14:
	v_pk_mov_b32 v[6:7], v[8:9], v[8:9] op_sel:[0,1]
.LBB4_15:
	s_cmp_eq_u32 s3, 1
	s_cselect_b64 s[16:17], -1, 0
	s_cmpk_eq_i32 s1, 0x6f
	s_cselect_b64 s[18:19], -1, 0
	s_cmpk_lg_i32 s1, 0x6f
	s_cselect_b64 s[0:1], -1, 0
	s_cmp_lg_u32 s3, 1
	v_mov_b32_e32 v5, 0
	s_cbranch_scc0 .LBB4_19
; %bb.16:
	s_andn2_b64 vcc, exec, s[0:1]
	v_pk_mov_b32 v[8:9], v[4:5], v[4:5] op_sel:[0,1]
	s_cbranch_vccnz .LBB4_18
; %bb.17:
	v_mad_u64_u32 v[8:9], s[0:1], v4, s8, 0
	v_mov_b32_e32 v14, v9
	v_mad_u64_u32 v[14:15], s[0:1], v4, s9, v[14:15]
	v_mov_b32_e32 v9, v14
.LBB4_18:
	s_cbranch_execz .LBB4_20
	s_branch .LBB4_23
.LBB4_19:
                                        ; implicit-def: $vgpr8_vgpr9
.LBB4_20:
	s_andn2_b64 vcc, exec, s[18:19]
	s_cbranch_vccnz .LBB4_22
; %bb.21:
	v_mad_u64_u32 v[8:9], s[0:1], v4, s8, 0
	v_mov_b32_e32 v14, v9
	v_mad_u64_u32 v[4:5], s[0:1], v4, s9, v[14:15]
	v_mov_b32_e32 v9, v4
	v_pk_mov_b32 v[4:5], v[8:9], v[8:9] op_sel:[0,1]
.LBB4_22:
	v_pk_mov_b32 v[8:9], v[4:5], v[4:5] op_sel:[0,1]
.LBB4_23:
	s_load_dwordx2 s[0:1], s[4:5], 0x50
	v_and_b32_e32 v13, 1, v0
	v_cmp_gt_i32_e32 vcc, s10, v13
	v_mov_b32_e32 v14, 0
	s_and_saveexec_b64 s[2:3], vcc
	s_cbranch_execz .LBB4_27
; %bb.24:
	s_load_dwordx2 s[20:21], s[4:5], 0x28
	s_load_dwordx2 s[22:23], s[4:5], 0x38
	s_xor_b64 s[4:5], s[12:13], s[6:7]
	s_and_b64 s[4:5], s[4:5], exec
	s_cselect_b32 s5, 0, s15
	s_cselect_b32 s4, 1, s14
	v_and_b32_e32 v14, 1, v0
	v_mul_lo_u32 v1, s5, v14
	v_mul_lo_u32 v0, s4, v14
	v_lshlrev_b64 v[0:1], 1, v[0:1]
	v_lshlrev_b64 v[4:5], 1, v[6:7]
	s_xor_b64 s[6:7], s[18:19], s[16:17]
	v_add_co_u32_e32 v0, vcc, v0, v4
	s_and_b64 s[6:7], s[6:7], exec
	v_addc_co_u32_e32 v1, vcc, v1, v5, vcc
	s_cselect_b32 s7, s9, 0
	s_cselect_b32 s6, s8, 1
	s_waitcnt lgkmcnt(0)
	v_mov_b32_e32 v4, s21
	v_add_co_u32_e32 v0, vcc, s20, v0
	v_addc_co_u32_e32 v1, vcc, v4, v1, vcc
	v_mul_lo_u32 v5, s7, v14
	v_mul_lo_u32 v4, s6, v14
	v_lshlrev_b64 v[4:5], 1, v[4:5]
	v_lshlrev_b64 v[6:7], 1, v[8:9]
	v_add_co_u32_e32 v4, vcc, v4, v6
	v_addc_co_u32_e32 v5, vcc, v5, v7, vcc
	s_lshl_b64 s[4:5], s[4:5], 2
	v_mov_b32_e32 v6, s23
	v_add_co_u32_e32 v4, vcc, s22, v4
	s_lshl_b64 s[8:9], s[6:7], 2
	v_addc_co_u32_e32 v5, vcc, v6, v5, vcc
	s_mov_b64 s[6:7], 0
	v_mov_b32_e32 v14, 0
	v_mov_b32_e32 v6, s5
	;; [unrolled: 1-line block ×4, first 2 shown]
.LBB4_25:                               ; =>This Inner Loop Header: Depth=1
	global_load_ushort v9, v[0:1], off
	global_load_ushort v15, v[4:5], off
	v_add_co_u32_e32 v0, vcc, s4, v0
	v_addc_co_u32_e32 v1, vcc, v1, v6, vcc
	v_add_co_u32_e32 v4, vcc, s8, v4
	v_add_u32_e32 v8, 2, v8
	v_addc_co_u32_e32 v5, vcc, v5, v7, vcc
	v_cmp_le_i32_e32 vcc, s10, v8
	s_or_b64 s[6:7], vcc, s[6:7]
	s_waitcnt vmcnt(0)
	v_fma_f16 v14, v9, v15, v14
	s_andn2_b64 exec, exec, s[6:7]
	s_cbranch_execnz .LBB4_25
; %bb.26:
	s_or_b64 exec, exec, s[6:7]
.LBB4_27:
	s_or_b64 exec, exec, s[2:3]
	v_lshlrev_b32_e32 v0, 2, v12
	v_lshl_or_b32 v1, v13, 1, v0
	v_cmp_eq_u32_e32 vcc, 0, v13
	ds_write_b16 v1, v14
	s_waitcnt lgkmcnt(0)
	s_barrier
	s_and_saveexec_b64 s[2:3], vcc
	s_cbranch_execz .LBB4_29
; %bb.28:
	ds_read_u16 v4, v0 offset:2
	ds_read_u16 v5, v1
	s_waitcnt lgkmcnt(0)
	v_add_f16_e32 v4, v4, v5
	ds_write_b16 v1, v4
.LBB4_29:
	s_or_b64 exec, exec, s[2:3]
	s_waitcnt lgkmcnt(0)
	s_barrier
	s_and_b64 exec, exec, vcc
	s_cbranch_execz .LBB4_31
; %bb.30:
	v_lshlrev_b64 v[2:3], 1, v[2:3]
	v_mov_b32_e32 v1, s1
	v_add_co_u32_e32 v2, vcc, s0, v2
	v_addc_co_u32_e32 v3, vcc, v1, v3, vcc
	global_load_ushort v1, v[2:3], off
	ds_read_u16 v0, v0
	s_waitcnt lgkmcnt(0)
	v_mul_f16_e32 v0, v10, v0
	s_waitcnt vmcnt(0)
	v_fma_f16 v0, v11, v1, v0
	global_store_short v[2:3], v0, off
.LBB4_31:
	s_endpgm
	.section	.rodata,"a",@progbits
	.p2align	6, 0x0
	.amdhsa_kernel _ZN9rocsparseL16sddmm_ell_kernelILi512ELi2EDF16_iiDF16_DF16_DF16_EEv20rocsparse_operation_S1_16rocsparse_order_S2_T3_S3_S3_T2_NS_24const_host_device_scalarIT1_EEPKT4_lPKT5_lS7_PT6_PKS3_21rocsparse_index_base_b
		.amdhsa_group_segment_fixed_size 1024
		.amdhsa_private_segment_fixed_size 0
		.amdhsa_kernarg_size 104
		.amdhsa_user_sgpr_count 6
		.amdhsa_user_sgpr_private_segment_buffer 1
		.amdhsa_user_sgpr_dispatch_ptr 0
		.amdhsa_user_sgpr_queue_ptr 0
		.amdhsa_user_sgpr_kernarg_segment_ptr 1
		.amdhsa_user_sgpr_dispatch_id 0
		.amdhsa_user_sgpr_flat_scratch_init 0
		.amdhsa_user_sgpr_kernarg_preload_length 0
		.amdhsa_user_sgpr_kernarg_preload_offset 0
		.amdhsa_user_sgpr_private_segment_size 0
		.amdhsa_uses_dynamic_stack 0
		.amdhsa_system_sgpr_private_segment_wavefront_offset 0
		.amdhsa_system_sgpr_workgroup_id_x 1
		.amdhsa_system_sgpr_workgroup_id_y 0
		.amdhsa_system_sgpr_workgroup_id_z 0
		.amdhsa_system_sgpr_workgroup_info 0
		.amdhsa_system_vgpr_workitem_id 0
		.amdhsa_next_free_vgpr 16
		.amdhsa_next_free_sgpr 24
		.amdhsa_accum_offset 16
		.amdhsa_reserve_vcc 1
		.amdhsa_reserve_flat_scratch 0
		.amdhsa_float_round_mode_32 0
		.amdhsa_float_round_mode_16_64 0
		.amdhsa_float_denorm_mode_32 3
		.amdhsa_float_denorm_mode_16_64 3
		.amdhsa_dx10_clamp 1
		.amdhsa_ieee_mode 1
		.amdhsa_fp16_overflow 0
		.amdhsa_tg_split 0
		.amdhsa_exception_fp_ieee_invalid_op 0
		.amdhsa_exception_fp_denorm_src 0
		.amdhsa_exception_fp_ieee_div_zero 0
		.amdhsa_exception_fp_ieee_overflow 0
		.amdhsa_exception_fp_ieee_underflow 0
		.amdhsa_exception_fp_ieee_inexact 0
		.amdhsa_exception_int_div_zero 0
	.end_amdhsa_kernel
	.section	.text._ZN9rocsparseL16sddmm_ell_kernelILi512ELi2EDF16_iiDF16_DF16_DF16_EEv20rocsparse_operation_S1_16rocsparse_order_S2_T3_S3_S3_T2_NS_24const_host_device_scalarIT1_EEPKT4_lPKT5_lS7_PT6_PKS3_21rocsparse_index_base_b,"axG",@progbits,_ZN9rocsparseL16sddmm_ell_kernelILi512ELi2EDF16_iiDF16_DF16_DF16_EEv20rocsparse_operation_S1_16rocsparse_order_S2_T3_S3_S3_T2_NS_24const_host_device_scalarIT1_EEPKT4_lPKT5_lS7_PT6_PKS3_21rocsparse_index_base_b,comdat
.Lfunc_end4:
	.size	_ZN9rocsparseL16sddmm_ell_kernelILi512ELi2EDF16_iiDF16_DF16_DF16_EEv20rocsparse_operation_S1_16rocsparse_order_S2_T3_S3_S3_T2_NS_24const_host_device_scalarIT1_EEPKT4_lPKT5_lS7_PT6_PKS3_21rocsparse_index_base_b, .Lfunc_end4-_ZN9rocsparseL16sddmm_ell_kernelILi512ELi2EDF16_iiDF16_DF16_DF16_EEv20rocsparse_operation_S1_16rocsparse_order_S2_T3_S3_S3_T2_NS_24const_host_device_scalarIT1_EEPKT4_lPKT5_lS7_PT6_PKS3_21rocsparse_index_base_b
                                        ; -- End function
	.section	.AMDGPU.csdata,"",@progbits
; Kernel info:
; codeLenInByte = 1072
; NumSgprs: 28
; NumVgprs: 16
; NumAgprs: 0
; TotalNumVgprs: 16
; ScratchSize: 0
; MemoryBound: 0
; FloatMode: 240
; IeeeMode: 1
; LDSByteSize: 1024 bytes/workgroup (compile time only)
; SGPRBlocks: 3
; VGPRBlocks: 1
; NumSGPRsForWavesPerEU: 28
; NumVGPRsForWavesPerEU: 16
; AccumOffset: 16
; Occupancy: 8
; WaveLimiterHint : 0
; COMPUTE_PGM_RSRC2:SCRATCH_EN: 0
; COMPUTE_PGM_RSRC2:USER_SGPR: 6
; COMPUTE_PGM_RSRC2:TRAP_HANDLER: 0
; COMPUTE_PGM_RSRC2:TGID_X_EN: 1
; COMPUTE_PGM_RSRC2:TGID_Y_EN: 0
; COMPUTE_PGM_RSRC2:TGID_Z_EN: 0
; COMPUTE_PGM_RSRC2:TIDIG_COMP_CNT: 0
; COMPUTE_PGM_RSRC3_GFX90A:ACCUM_OFFSET: 3
; COMPUTE_PGM_RSRC3_GFX90A:TG_SPLIT: 0
	.section	.text._ZN9rocsparseL16sddmm_ell_kernelILi512ELi1EDF16_iiDF16_DF16_DF16_EEv20rocsparse_operation_S1_16rocsparse_order_S2_T3_S3_S3_T2_NS_24const_host_device_scalarIT1_EEPKT4_lPKT5_lS7_PT6_PKS3_21rocsparse_index_base_b,"axG",@progbits,_ZN9rocsparseL16sddmm_ell_kernelILi512ELi1EDF16_iiDF16_DF16_DF16_EEv20rocsparse_operation_S1_16rocsparse_order_S2_T3_S3_S3_T2_NS_24const_host_device_scalarIT1_EEPKT4_lPKT5_lS7_PT6_PKS3_21rocsparse_index_base_b,comdat
	.globl	_ZN9rocsparseL16sddmm_ell_kernelILi512ELi1EDF16_iiDF16_DF16_DF16_EEv20rocsparse_operation_S1_16rocsparse_order_S2_T3_S3_S3_T2_NS_24const_host_device_scalarIT1_EEPKT4_lPKT5_lS7_PT6_PKS3_21rocsparse_index_base_b ; -- Begin function _ZN9rocsparseL16sddmm_ell_kernelILi512ELi1EDF16_iiDF16_DF16_DF16_EEv20rocsparse_operation_S1_16rocsparse_order_S2_T3_S3_S3_T2_NS_24const_host_device_scalarIT1_EEPKT4_lPKT5_lS7_PT6_PKS3_21rocsparse_index_base_b
	.p2align	8
	.type	_ZN9rocsparseL16sddmm_ell_kernelILi512ELi1EDF16_iiDF16_DF16_DF16_EEv20rocsparse_operation_S1_16rocsparse_order_S2_T3_S3_S3_T2_NS_24const_host_device_scalarIT1_EEPKT4_lPKT5_lS7_PT6_PKS3_21rocsparse_index_base_b,@function
_ZN9rocsparseL16sddmm_ell_kernelILi512ELi1EDF16_iiDF16_DF16_DF16_EEv20rocsparse_operation_S1_16rocsparse_order_S2_T3_S3_S3_T2_NS_24const_host_device_scalarIT1_EEPKT4_lPKT5_lS7_PT6_PKS3_21rocsparse_index_base_b: ; @_ZN9rocsparseL16sddmm_ell_kernelILi512ELi1EDF16_iiDF16_DF16_DF16_EEv20rocsparse_operation_S1_16rocsparse_order_S2_T3_S3_S3_T2_NS_24const_host_device_scalarIT1_EEPKT4_lPKT5_lS7_PT6_PKS3_21rocsparse_index_base_b
; %bb.0:
	s_load_dwordx2 s[2:3], s[4:5], 0x60
	s_load_dwordx2 s[12:13], s[4:5], 0x20
	s_load_dwordx4 s[8:11], s[4:5], 0x40
	s_waitcnt lgkmcnt(0)
	s_bitcmp1_b32 s3, 0
	s_cselect_b64 s[14:15], -1, 0
	s_xor_b64 s[0:1], s[14:15], -1
	s_and_b64 vcc, exec, s[14:15]
	v_mov_b32_e32 v1, s12
	s_cbranch_vccnz .LBB5_2
; %bb.1:
	v_mov_b32_e32 v1, 0
	global_load_ushort v1, v1, s[12:13]
.LBB5_2:
	s_andn2_b64 vcc, exec, s[0:1]
	v_mov_b32_e32 v10, s10
	s_cbranch_vccnz .LBB5_4
; %bb.3:
	v_mov_b32_e32 v2, 0
	global_load_ushort v10, v2, s[10:11]
.LBB5_4:
	s_waitcnt vmcnt(0)
	v_cmp_eq_f16_e32 vcc, 0, v1
	v_cmp_eq_f16_e64 s[0:1], 1.0, v10
	s_and_b64 s[0:1], vcc, s[0:1]
	s_and_b64 vcc, exec, s[0:1]
	s_cbranch_vccnz .LBB5_28
; %bb.5:
	s_load_dwordx2 s[10:11], s[4:5], 0x18
	v_lshl_or_b32 v2, s6, 9, v0
	s_waitcnt lgkmcnt(0)
	v_cmp_gt_i32_e32 vcc, s11, v2
	s_and_saveexec_b64 s[0:1], vcc
	s_cbranch_execz .LBB5_28
; %bb.6:
	s_load_dwordx2 s[0:1], s[4:5], 0x58
	v_ashrrev_i32_e32 v3, 31, v2
	v_lshlrev_b64 v[4:5], 2, v[2:3]
	s_waitcnt lgkmcnt(0)
	v_mov_b32_e32 v6, s1
	v_add_co_u32_e32 v4, vcc, s0, v4
	v_addc_co_u32_e32 v5, vcc, v6, v5, vcc
	global_load_dword v4, v[4:5], off
	s_waitcnt vmcnt(0)
	v_subrev_u32_e32 v4, s2, v4
	v_cmp_lt_i32_e32 vcc, -1, v4
	s_and_b64 exec, exec, vcc
	s_cbranch_execz .LBB5_28
; %bb.7:
	s_load_dwordx4 s[0:3], s[4:5], 0x0
	s_load_dword s11, s[4:5], 0x10
	v_sub_u32_e32 v6, 0, v2
	v_max_i32_e32 v6, v2, v6
	s_load_dwordx2 s[14:15], s[4:5], 0x30
	s_waitcnt lgkmcnt(0)
	s_cmp_eq_u32 s2, 1
	s_cselect_b64 s[6:7], -1, 0
	s_cmpk_eq_i32 s0, 0x6f
	s_cselect_b64 s[12:13], -1, 0
	s_cmpk_lg_i32 s0, 0x6f
	s_cselect_b64 s[16:17], -1, 0
	s_abs_i32 s0, s11
	v_cvt_f32_u32_e32 v5, s0
	s_sub_i32 s11, 0, s0
	s_cmp_lg_u32 s2, 1
	v_rcp_iflag_f32_e32 v5, v5
	v_mul_f32_e32 v5, 0x4f7ffffe, v5
	v_cvt_u32_f32_e32 v5, v5
	v_mul_lo_u32 v7, s11, v5
	v_mul_hi_u32 v7, v5, v7
	v_add_u32_e32 v5, v5, v7
	v_mul_hi_u32 v5, v6, v5
	v_mul_lo_u32 v5, v5, s0
	v_sub_u32_e32 v5, v6, v5
	v_subrev_u32_e32 v6, s0, v5
	v_cmp_le_u32_e32 vcc, s0, v5
	v_cndmask_b32_e32 v5, v5, v6, vcc
	v_subrev_u32_e32 v6, s0, v5
	v_cmp_le_u32_e32 vcc, s0, v5
	v_cndmask_b32_e32 v5, v5, v6, vcc
	v_xor_b32_e32 v5, v5, v3
	v_sub_u32_e32 v8, v5, v3
	v_ashrrev_i32_e32 v9, 31, v8
	s_cbranch_scc0 .LBB5_11
; %bb.8:
	s_andn2_b64 vcc, exec, s[12:13]
	v_pk_mov_b32 v[6:7], v[8:9], v[8:9] op_sel:[0,1]
	s_cbranch_vccnz .LBB5_10
; %bb.9:
	v_mul_lo_u32 v5, v9, s14
	v_mul_lo_u32 v11, v8, s15
	v_mad_u64_u32 v[6:7], s[18:19], v8, s14, 0
	v_add3_u32 v7, v7, v11, v5
.LBB5_10:
	s_cbranch_execz .LBB5_12
	s_branch .LBB5_15
.LBB5_11:
                                        ; implicit-def: $vgpr6_vgpr7
.LBB5_12:
	s_andn2_b64 vcc, exec, s[16:17]
	s_cbranch_vccnz .LBB5_14
; %bb.13:
	v_mul_lo_u32 v5, v9, s14
	v_mul_lo_u32 v6, v8, s15
	v_mad_u64_u32 v[8:9], s[16:17], v8, s14, 0
	v_add3_u32 v9, v9, v6, v5
.LBB5_14:
	v_pk_mov_b32 v[6:7], v[8:9], v[8:9] op_sel:[0,1]
.LBB5_15:
	s_cmp_eq_u32 s3, 1
	s_cselect_b64 s[16:17], -1, 0
	s_cmpk_eq_i32 s1, 0x6f
	s_cselect_b64 s[18:19], -1, 0
	s_cmpk_lg_i32 s1, 0x6f
	s_cselect_b64 s[0:1], -1, 0
	s_cmp_lg_u32 s3, 1
	v_mov_b32_e32 v5, 0
	s_cbranch_scc0 .LBB5_19
; %bb.16:
	s_andn2_b64 vcc, exec, s[0:1]
	v_pk_mov_b32 v[8:9], v[4:5], v[4:5] op_sel:[0,1]
	s_cbranch_vccnz .LBB5_18
; %bb.17:
	v_mad_u64_u32 v[8:9], s[0:1], v4, s8, 0
	v_mov_b32_e32 v12, v9
	v_mad_u64_u32 v[12:13], s[0:1], v4, s9, v[12:13]
	v_mov_b32_e32 v9, v12
.LBB5_18:
	s_cbranch_execz .LBB5_20
	s_branch .LBB5_23
.LBB5_19:
                                        ; implicit-def: $vgpr8_vgpr9
.LBB5_20:
	s_andn2_b64 vcc, exec, s[18:19]
	s_cbranch_vccnz .LBB5_22
; %bb.21:
	v_mad_u64_u32 v[8:9], s[0:1], v4, s8, 0
	v_mov_b32_e32 v12, v9
	v_mad_u64_u32 v[4:5], s[0:1], v4, s9, v[12:13]
	v_mov_b32_e32 v9, v4
	v_pk_mov_b32 v[4:5], v[8:9], v[8:9] op_sel:[0,1]
.LBB5_22:
	v_pk_mov_b32 v[8:9], v[4:5], v[4:5] op_sel:[0,1]
.LBB5_23:
	s_load_dwordx2 s[0:1], s[4:5], 0x50
	s_cmp_lt_i32 s10, 1
	s_cbranch_scc1 .LBB5_26
; %bb.24:
	s_load_dwordx2 s[2:3], s[4:5], 0x38
	s_load_dwordx2 s[20:21], s[4:5], 0x28
	v_lshlrev_b64 v[4:5], 1, v[8:9]
	v_lshlrev_b64 v[6:7], 1, v[6:7]
	s_waitcnt lgkmcnt(0)
	v_mov_b32_e32 v8, s3
	v_add_co_u32_e32 v4, vcc, s2, v4
	s_xor_b64 s[2:3], s[12:13], s[6:7]
	s_and_b64 s[2:3], s[2:3], exec
	s_cselect_b32 s3, 0, s15
	s_cselect_b32 s2, 1, s14
	s_xor_b64 s[4:5], s[18:19], s[16:17]
	s_and_b64 s[4:5], s[4:5], exec
	v_addc_co_u32_e32 v5, vcc, v8, v5, vcc
	s_cselect_b32 s5, s9, 0
	s_cselect_b32 s4, s8, 1
	v_mov_b32_e32 v8, s21
	v_add_co_u32_e32 v6, vcc, s20, v6
	s_lshl_b64 s[2:3], s[2:3], 1
	s_lshl_b64 s[4:5], s[4:5], 1
	v_addc_co_u32_e32 v7, vcc, v8, v7, vcc
	v_mov_b32_e32 v8, 0
	v_mov_b32_e32 v9, s3
	;; [unrolled: 1-line block ×3, first 2 shown]
.LBB5_25:                               ; =>This Inner Loop Header: Depth=1
	global_load_ushort v12, v[6:7], off
	global_load_ushort v13, v[4:5], off
	v_add_co_u32_e32 v6, vcc, s2, v6
	v_addc_co_u32_e32 v7, vcc, v7, v9, vcc
	s_add_i32 s10, s10, -1
	v_add_co_u32_e32 v4, vcc, s4, v4
	v_addc_co_u32_e32 v5, vcc, v5, v11, vcc
	s_cmp_eq_u32 s10, 0
	s_waitcnt vmcnt(0)
	v_fma_f16 v8, v12, v13, v8
	s_cbranch_scc0 .LBB5_25
	s_branch .LBB5_27
.LBB5_26:
	v_mov_b32_e32 v8, 0
.LBB5_27:
	v_lshlrev_b64 v[2:3], 1, v[2:3]
	s_waitcnt lgkmcnt(0)
	v_mov_b32_e32 v4, s1
	v_add_co_u32_e32 v2, vcc, s0, v2
	v_lshlrev_b32_e32 v0, 1, v0
	v_addc_co_u32_e32 v3, vcc, v4, v3, vcc
	ds_write_b16 v0, v8
	s_waitcnt lgkmcnt(0)
	s_barrier
	global_load_ushort v4, v[2:3], off
	ds_read_u16 v0, v0
	s_waitcnt lgkmcnt(0)
	v_mul_f16_e32 v0, v1, v0
	s_waitcnt vmcnt(0)
	v_fma_f16 v0, v10, v4, v0
	global_store_short v[2:3], v0, off
.LBB5_28:
	s_endpgm
	.section	.rodata,"a",@progbits
	.p2align	6, 0x0
	.amdhsa_kernel _ZN9rocsparseL16sddmm_ell_kernelILi512ELi1EDF16_iiDF16_DF16_DF16_EEv20rocsparse_operation_S1_16rocsparse_order_S2_T3_S3_S3_T2_NS_24const_host_device_scalarIT1_EEPKT4_lPKT5_lS7_PT6_PKS3_21rocsparse_index_base_b
		.amdhsa_group_segment_fixed_size 1024
		.amdhsa_private_segment_fixed_size 0
		.amdhsa_kernarg_size 104
		.amdhsa_user_sgpr_count 6
		.amdhsa_user_sgpr_private_segment_buffer 1
		.amdhsa_user_sgpr_dispatch_ptr 0
		.amdhsa_user_sgpr_queue_ptr 0
		.amdhsa_user_sgpr_kernarg_segment_ptr 1
		.amdhsa_user_sgpr_dispatch_id 0
		.amdhsa_user_sgpr_flat_scratch_init 0
		.amdhsa_user_sgpr_kernarg_preload_length 0
		.amdhsa_user_sgpr_kernarg_preload_offset 0
		.amdhsa_user_sgpr_private_segment_size 0
		.amdhsa_uses_dynamic_stack 0
		.amdhsa_system_sgpr_private_segment_wavefront_offset 0
		.amdhsa_system_sgpr_workgroup_id_x 1
		.amdhsa_system_sgpr_workgroup_id_y 0
		.amdhsa_system_sgpr_workgroup_id_z 0
		.amdhsa_system_sgpr_workgroup_info 0
		.amdhsa_system_vgpr_workitem_id 0
		.amdhsa_next_free_vgpr 14
		.amdhsa_next_free_sgpr 22
		.amdhsa_accum_offset 16
		.amdhsa_reserve_vcc 1
		.amdhsa_reserve_flat_scratch 0
		.amdhsa_float_round_mode_32 0
		.amdhsa_float_round_mode_16_64 0
		.amdhsa_float_denorm_mode_32 3
		.amdhsa_float_denorm_mode_16_64 3
		.amdhsa_dx10_clamp 1
		.amdhsa_ieee_mode 1
		.amdhsa_fp16_overflow 0
		.amdhsa_tg_split 0
		.amdhsa_exception_fp_ieee_invalid_op 0
		.amdhsa_exception_fp_denorm_src 0
		.amdhsa_exception_fp_ieee_div_zero 0
		.amdhsa_exception_fp_ieee_overflow 0
		.amdhsa_exception_fp_ieee_underflow 0
		.amdhsa_exception_fp_ieee_inexact 0
		.amdhsa_exception_int_div_zero 0
	.end_amdhsa_kernel
	.section	.text._ZN9rocsparseL16sddmm_ell_kernelILi512ELi1EDF16_iiDF16_DF16_DF16_EEv20rocsparse_operation_S1_16rocsparse_order_S2_T3_S3_S3_T2_NS_24const_host_device_scalarIT1_EEPKT4_lPKT5_lS7_PT6_PKS3_21rocsparse_index_base_b,"axG",@progbits,_ZN9rocsparseL16sddmm_ell_kernelILi512ELi1EDF16_iiDF16_DF16_DF16_EEv20rocsparse_operation_S1_16rocsparse_order_S2_T3_S3_S3_T2_NS_24const_host_device_scalarIT1_EEPKT4_lPKT5_lS7_PT6_PKS3_21rocsparse_index_base_b,comdat
.Lfunc_end5:
	.size	_ZN9rocsparseL16sddmm_ell_kernelILi512ELi1EDF16_iiDF16_DF16_DF16_EEv20rocsparse_operation_S1_16rocsparse_order_S2_T3_S3_S3_T2_NS_24const_host_device_scalarIT1_EEPKT4_lPKT5_lS7_PT6_PKS3_21rocsparse_index_base_b, .Lfunc_end5-_ZN9rocsparseL16sddmm_ell_kernelILi512ELi1EDF16_iiDF16_DF16_DF16_EEv20rocsparse_operation_S1_16rocsparse_order_S2_T3_S3_S3_T2_NS_24const_host_device_scalarIT1_EEPKT4_lPKT5_lS7_PT6_PKS3_21rocsparse_index_base_b
                                        ; -- End function
	.section	.AMDGPU.csdata,"",@progbits
; Kernel info:
; codeLenInByte = 904
; NumSgprs: 26
; NumVgprs: 14
; NumAgprs: 0
; TotalNumVgprs: 14
; ScratchSize: 0
; MemoryBound: 0
; FloatMode: 240
; IeeeMode: 1
; LDSByteSize: 1024 bytes/workgroup (compile time only)
; SGPRBlocks: 3
; VGPRBlocks: 1
; NumSGPRsForWavesPerEU: 26
; NumVGPRsForWavesPerEU: 14
; AccumOffset: 16
; Occupancy: 8
; WaveLimiterHint : 0
; COMPUTE_PGM_RSRC2:SCRATCH_EN: 0
; COMPUTE_PGM_RSRC2:USER_SGPR: 6
; COMPUTE_PGM_RSRC2:TRAP_HANDLER: 0
; COMPUTE_PGM_RSRC2:TGID_X_EN: 1
; COMPUTE_PGM_RSRC2:TGID_Y_EN: 0
; COMPUTE_PGM_RSRC2:TGID_Z_EN: 0
; COMPUTE_PGM_RSRC2:TIDIG_COMP_CNT: 0
; COMPUTE_PGM_RSRC3_GFX90A:ACCUM_OFFSET: 3
; COMPUTE_PGM_RSRC3_GFX90A:TG_SPLIT: 0
	.section	.text._ZN9rocsparseL23sddmm_ell_sample_kernelILi16ELi32EfifEEvT2_S1_PKT3_lS1_PS2_PKS1_21rocsparse_index_base_,"axG",@progbits,_ZN9rocsparseL23sddmm_ell_sample_kernelILi16ELi32EfifEEvT2_S1_PKT3_lS1_PS2_PKS1_21rocsparse_index_base_,comdat
	.globl	_ZN9rocsparseL23sddmm_ell_sample_kernelILi16ELi32EfifEEvT2_S1_PKT3_lS1_PS2_PKS1_21rocsparse_index_base_ ; -- Begin function _ZN9rocsparseL23sddmm_ell_sample_kernelILi16ELi32EfifEEvT2_S1_PKT3_lS1_PS2_PKS1_21rocsparse_index_base_
	.p2align	8
	.type	_ZN9rocsparseL23sddmm_ell_sample_kernelILi16ELi32EfifEEvT2_S1_PKT3_lS1_PS2_PKS1_21rocsparse_index_base_,@function
_ZN9rocsparseL23sddmm_ell_sample_kernelILi16ELi32EfifEEvT2_S1_PKT3_lS1_PS2_PKS1_21rocsparse_index_base_: ; @_ZN9rocsparseL23sddmm_ell_sample_kernelILi16ELi32EfifEEvT2_S1_PKT3_lS1_PS2_PKS1_21rocsparse_index_base_
; %bb.0:
	s_load_dword s0, s[4:5], 0x18
	v_lshrrev_b32_e32 v1, 5, v0
	v_lshl_or_b32 v1, s6, 4, v1
	s_waitcnt lgkmcnt(0)
	v_cmp_gt_u32_e32 vcc, s0, v1
	s_and_saveexec_b64 s[0:1], vcc
	s_cbranch_execz .LBB6_6
; %bb.1:
	s_load_dwordx2 s[2:3], s[4:5], 0x0
	v_and_b32_e32 v6, 31, v0
	s_waitcnt lgkmcnt(0)
	v_cmp_gt_i32_e32 vcc, s2, v6
	s_and_b64 exec, exec, vcc
	s_cbranch_execz .LBB6_6
; %bb.2:
	s_load_dwordx4 s[16:19], s[4:5], 0x8
	s_load_dwordx4 s[8:11], s[4:5], 0x20
	s_load_dword s12, s[4:5], 0x30
	v_and_b32_e32 v0, 31, v0
	v_lshlrev_b32_e32 v0, 2, v0
	s_waitcnt lgkmcnt(0)
	v_mov_b32_e32 v3, s17
	v_add_co_u32_e32 v2, vcc, s16, v0
	v_mul_lo_u32 v7, v1, s2
	s_lshl_b64 s[4:5], s[18:19], 2
	v_mov_b32_e32 v1, 0
	v_addc_co_u32_e32 v3, vcc, 0, v3, vcc
	s_mov_b64 s[6:7], 0
	v_mov_b32_e32 v8, s11
	s_branch .LBB6_4
.LBB6_3:                                ;   in Loop: Header=BB6_4 Depth=1
	s_or_b64 exec, exec, s[0:1]
	v_add_u32_e32 v6, 32, v6
	v_add_co_u32_e32 v2, vcc, 0x80, v2
	v_cmp_le_i32_e64 s[0:1], s2, v6
	s_or_b64 s[6:7], s[0:1], s[6:7]
	v_addc_co_u32_e32 v3, vcc, 0, v3, vcc
	s_andn2_b64 exec, exec, s[6:7]
	s_cbranch_execz .LBB6_6
.LBB6_4:                                ; =>This Inner Loop Header: Depth=1
	v_add_u32_e32 v0, v7, v6
	v_lshlrev_b64 v[4:5], 2, v[0:1]
	v_add_co_u32_e32 v10, vcc, s10, v4
	v_addc_co_u32_e32 v11, vcc, v8, v5, vcc
	global_load_dword v0, v[10:11], off
	s_waitcnt vmcnt(0)
	v_subrev_u32_e32 v0, s12, v0
	v_cmp_lt_i32_e32 vcc, -1, v0
	v_cmp_gt_i32_e64 s[0:1], s3, v0
	s_and_b64 s[14:15], vcc, s[0:1]
	s_and_saveexec_b64 s[0:1], s[14:15]
	s_cbranch_execz .LBB6_3
; %bb.5:                                ;   in Loop: Header=BB6_4 Depth=1
	v_mad_u64_u32 v[10:11], s[14:15], s4, v0, v[2:3]
	v_mov_b32_e32 v12, v11
	v_mad_u64_u32 v[12:13], s[14:15], s5, v0, v[12:13]
	v_mov_b32_e32 v11, v12
	global_load_dword v0, v[10:11], off
	v_mov_b32_e32 v9, s9
	v_add_co_u32_e32 v4, vcc, s8, v4
	v_addc_co_u32_e32 v5, vcc, v9, v5, vcc
	s_waitcnt vmcnt(0)
	global_store_dword v[4:5], v0, off
	s_branch .LBB6_3
.LBB6_6:
	s_endpgm
	.section	.rodata,"a",@progbits
	.p2align	6, 0x0
	.amdhsa_kernel _ZN9rocsparseL23sddmm_ell_sample_kernelILi16ELi32EfifEEvT2_S1_PKT3_lS1_PS2_PKS1_21rocsparse_index_base_
		.amdhsa_group_segment_fixed_size 0
		.amdhsa_private_segment_fixed_size 0
		.amdhsa_kernarg_size 52
		.amdhsa_user_sgpr_count 6
		.amdhsa_user_sgpr_private_segment_buffer 1
		.amdhsa_user_sgpr_dispatch_ptr 0
		.amdhsa_user_sgpr_queue_ptr 0
		.amdhsa_user_sgpr_kernarg_segment_ptr 1
		.amdhsa_user_sgpr_dispatch_id 0
		.amdhsa_user_sgpr_flat_scratch_init 0
		.amdhsa_user_sgpr_kernarg_preload_length 0
		.amdhsa_user_sgpr_kernarg_preload_offset 0
		.amdhsa_user_sgpr_private_segment_size 0
		.amdhsa_uses_dynamic_stack 0
		.amdhsa_system_sgpr_private_segment_wavefront_offset 0
		.amdhsa_system_sgpr_workgroup_id_x 1
		.amdhsa_system_sgpr_workgroup_id_y 0
		.amdhsa_system_sgpr_workgroup_id_z 0
		.amdhsa_system_sgpr_workgroup_info 0
		.amdhsa_system_vgpr_workitem_id 0
		.amdhsa_next_free_vgpr 14
		.amdhsa_next_free_sgpr 20
		.amdhsa_accum_offset 16
		.amdhsa_reserve_vcc 1
		.amdhsa_reserve_flat_scratch 0
		.amdhsa_float_round_mode_32 0
		.amdhsa_float_round_mode_16_64 0
		.amdhsa_float_denorm_mode_32 3
		.amdhsa_float_denorm_mode_16_64 3
		.amdhsa_dx10_clamp 1
		.amdhsa_ieee_mode 1
		.amdhsa_fp16_overflow 0
		.amdhsa_tg_split 0
		.amdhsa_exception_fp_ieee_invalid_op 0
		.amdhsa_exception_fp_denorm_src 0
		.amdhsa_exception_fp_ieee_div_zero 0
		.amdhsa_exception_fp_ieee_overflow 0
		.amdhsa_exception_fp_ieee_underflow 0
		.amdhsa_exception_fp_ieee_inexact 0
		.amdhsa_exception_int_div_zero 0
	.end_amdhsa_kernel
	.section	.text._ZN9rocsparseL23sddmm_ell_sample_kernelILi16ELi32EfifEEvT2_S1_PKT3_lS1_PS2_PKS1_21rocsparse_index_base_,"axG",@progbits,_ZN9rocsparseL23sddmm_ell_sample_kernelILi16ELi32EfifEEvT2_S1_PKT3_lS1_PS2_PKS1_21rocsparse_index_base_,comdat
.Lfunc_end6:
	.size	_ZN9rocsparseL23sddmm_ell_sample_kernelILi16ELi32EfifEEvT2_S1_PKT3_lS1_PS2_PKS1_21rocsparse_index_base_, .Lfunc_end6-_ZN9rocsparseL23sddmm_ell_sample_kernelILi16ELi32EfifEEvT2_S1_PKT3_lS1_PS2_PKS1_21rocsparse_index_base_
                                        ; -- End function
	.section	.AMDGPU.csdata,"",@progbits
; Kernel info:
; codeLenInByte = 304
; NumSgprs: 24
; NumVgprs: 14
; NumAgprs: 0
; TotalNumVgprs: 14
; ScratchSize: 0
; MemoryBound: 0
; FloatMode: 240
; IeeeMode: 1
; LDSByteSize: 0 bytes/workgroup (compile time only)
; SGPRBlocks: 2
; VGPRBlocks: 1
; NumSGPRsForWavesPerEU: 24
; NumVGPRsForWavesPerEU: 14
; AccumOffset: 16
; Occupancy: 8
; WaveLimiterHint : 1
; COMPUTE_PGM_RSRC2:SCRATCH_EN: 0
; COMPUTE_PGM_RSRC2:USER_SGPR: 6
; COMPUTE_PGM_RSRC2:TRAP_HANDLER: 0
; COMPUTE_PGM_RSRC2:TGID_X_EN: 1
; COMPUTE_PGM_RSRC2:TGID_Y_EN: 0
; COMPUTE_PGM_RSRC2:TGID_Z_EN: 0
; COMPUTE_PGM_RSRC2:TIDIG_COMP_CNT: 0
; COMPUTE_PGM_RSRC3_GFX90A:ACCUM_OFFSET: 3
; COMPUTE_PGM_RSRC3_GFX90A:TG_SPLIT: 0
	.section	.text._ZN9rocsparseL23sddmm_ell_sample_kernelILi16ELi64EfifEEvT2_S1_PKT3_lS1_PS2_PKS1_21rocsparse_index_base_,"axG",@progbits,_ZN9rocsparseL23sddmm_ell_sample_kernelILi16ELi64EfifEEvT2_S1_PKT3_lS1_PS2_PKS1_21rocsparse_index_base_,comdat
	.globl	_ZN9rocsparseL23sddmm_ell_sample_kernelILi16ELi64EfifEEvT2_S1_PKT3_lS1_PS2_PKS1_21rocsparse_index_base_ ; -- Begin function _ZN9rocsparseL23sddmm_ell_sample_kernelILi16ELi64EfifEEvT2_S1_PKT3_lS1_PS2_PKS1_21rocsparse_index_base_
	.p2align	8
	.type	_ZN9rocsparseL23sddmm_ell_sample_kernelILi16ELi64EfifEEvT2_S1_PKT3_lS1_PS2_PKS1_21rocsparse_index_base_,@function
_ZN9rocsparseL23sddmm_ell_sample_kernelILi16ELi64EfifEEvT2_S1_PKT3_lS1_PS2_PKS1_21rocsparse_index_base_: ; @_ZN9rocsparseL23sddmm_ell_sample_kernelILi16ELi64EfifEEvT2_S1_PKT3_lS1_PS2_PKS1_21rocsparse_index_base_
; %bb.0:
	s_load_dword s0, s[4:5], 0x18
	v_lshrrev_b32_e32 v1, 6, v0
	v_lshl_or_b32 v1, s6, 4, v1
	s_waitcnt lgkmcnt(0)
	v_cmp_gt_u32_e32 vcc, s0, v1
	s_and_saveexec_b64 s[0:1], vcc
	s_cbranch_execz .LBB7_6
; %bb.1:
	s_load_dwordx2 s[2:3], s[4:5], 0x0
	v_and_b32_e32 v6, 63, v0
	s_waitcnt lgkmcnt(0)
	v_cmp_gt_i32_e32 vcc, s2, v6
	s_and_b64 exec, exec, vcc
	s_cbranch_execz .LBB7_6
; %bb.2:
	s_load_dwordx4 s[16:19], s[4:5], 0x8
	s_load_dwordx4 s[8:11], s[4:5], 0x20
	s_load_dword s12, s[4:5], 0x30
	v_and_b32_e32 v0, 63, v0
	v_lshlrev_b32_e32 v0, 2, v0
	s_waitcnt lgkmcnt(0)
	v_mov_b32_e32 v3, s17
	v_add_co_u32_e32 v2, vcc, s16, v0
	v_mul_lo_u32 v7, v1, s2
	s_lshl_b64 s[4:5], s[18:19], 2
	v_mov_b32_e32 v1, 0
	v_addc_co_u32_e32 v3, vcc, 0, v3, vcc
	s_mov_b64 s[6:7], 0
	v_mov_b32_e32 v8, s11
	s_branch .LBB7_4
.LBB7_3:                                ;   in Loop: Header=BB7_4 Depth=1
	s_or_b64 exec, exec, s[0:1]
	v_add_u32_e32 v6, 64, v6
	v_add_co_u32_e32 v2, vcc, 0x100, v2
	v_cmp_le_i32_e64 s[0:1], s2, v6
	s_or_b64 s[6:7], s[0:1], s[6:7]
	v_addc_co_u32_e32 v3, vcc, 0, v3, vcc
	s_andn2_b64 exec, exec, s[6:7]
	s_cbranch_execz .LBB7_6
.LBB7_4:                                ; =>This Inner Loop Header: Depth=1
	v_add_u32_e32 v0, v7, v6
	v_lshlrev_b64 v[4:5], 2, v[0:1]
	v_add_co_u32_e32 v10, vcc, s10, v4
	v_addc_co_u32_e32 v11, vcc, v8, v5, vcc
	global_load_dword v0, v[10:11], off
	s_waitcnt vmcnt(0)
	v_subrev_u32_e32 v0, s12, v0
	v_cmp_lt_i32_e32 vcc, -1, v0
	v_cmp_gt_i32_e64 s[0:1], s3, v0
	s_and_b64 s[14:15], vcc, s[0:1]
	s_and_saveexec_b64 s[0:1], s[14:15]
	s_cbranch_execz .LBB7_3
; %bb.5:                                ;   in Loop: Header=BB7_4 Depth=1
	v_mad_u64_u32 v[10:11], s[14:15], s4, v0, v[2:3]
	v_mov_b32_e32 v12, v11
	v_mad_u64_u32 v[12:13], s[14:15], s5, v0, v[12:13]
	v_mov_b32_e32 v11, v12
	global_load_dword v0, v[10:11], off
	v_mov_b32_e32 v9, s9
	v_add_co_u32_e32 v4, vcc, s8, v4
	v_addc_co_u32_e32 v5, vcc, v9, v5, vcc
	s_waitcnt vmcnt(0)
	global_store_dword v[4:5], v0, off
	s_branch .LBB7_3
.LBB7_6:
	s_endpgm
	.section	.rodata,"a",@progbits
	.p2align	6, 0x0
	.amdhsa_kernel _ZN9rocsparseL23sddmm_ell_sample_kernelILi16ELi64EfifEEvT2_S1_PKT3_lS1_PS2_PKS1_21rocsparse_index_base_
		.amdhsa_group_segment_fixed_size 0
		.amdhsa_private_segment_fixed_size 0
		.amdhsa_kernarg_size 52
		.amdhsa_user_sgpr_count 6
		.amdhsa_user_sgpr_private_segment_buffer 1
		.amdhsa_user_sgpr_dispatch_ptr 0
		.amdhsa_user_sgpr_queue_ptr 0
		.amdhsa_user_sgpr_kernarg_segment_ptr 1
		.amdhsa_user_sgpr_dispatch_id 0
		.amdhsa_user_sgpr_flat_scratch_init 0
		.amdhsa_user_sgpr_kernarg_preload_length 0
		.amdhsa_user_sgpr_kernarg_preload_offset 0
		.amdhsa_user_sgpr_private_segment_size 0
		.amdhsa_uses_dynamic_stack 0
		.amdhsa_system_sgpr_private_segment_wavefront_offset 0
		.amdhsa_system_sgpr_workgroup_id_x 1
		.amdhsa_system_sgpr_workgroup_id_y 0
		.amdhsa_system_sgpr_workgroup_id_z 0
		.amdhsa_system_sgpr_workgroup_info 0
		.amdhsa_system_vgpr_workitem_id 0
		.amdhsa_next_free_vgpr 14
		.amdhsa_next_free_sgpr 20
		.amdhsa_accum_offset 16
		.amdhsa_reserve_vcc 1
		.amdhsa_reserve_flat_scratch 0
		.amdhsa_float_round_mode_32 0
		.amdhsa_float_round_mode_16_64 0
		.amdhsa_float_denorm_mode_32 3
		.amdhsa_float_denorm_mode_16_64 3
		.amdhsa_dx10_clamp 1
		.amdhsa_ieee_mode 1
		.amdhsa_fp16_overflow 0
		.amdhsa_tg_split 0
		.amdhsa_exception_fp_ieee_invalid_op 0
		.amdhsa_exception_fp_denorm_src 0
		.amdhsa_exception_fp_ieee_div_zero 0
		.amdhsa_exception_fp_ieee_overflow 0
		.amdhsa_exception_fp_ieee_underflow 0
		.amdhsa_exception_fp_ieee_inexact 0
		.amdhsa_exception_int_div_zero 0
	.end_amdhsa_kernel
	.section	.text._ZN9rocsparseL23sddmm_ell_sample_kernelILi16ELi64EfifEEvT2_S1_PKT3_lS1_PS2_PKS1_21rocsparse_index_base_,"axG",@progbits,_ZN9rocsparseL23sddmm_ell_sample_kernelILi16ELi64EfifEEvT2_S1_PKT3_lS1_PS2_PKS1_21rocsparse_index_base_,comdat
.Lfunc_end7:
	.size	_ZN9rocsparseL23sddmm_ell_sample_kernelILi16ELi64EfifEEvT2_S1_PKT3_lS1_PS2_PKS1_21rocsparse_index_base_, .Lfunc_end7-_ZN9rocsparseL23sddmm_ell_sample_kernelILi16ELi64EfifEEvT2_S1_PKT3_lS1_PS2_PKS1_21rocsparse_index_base_
                                        ; -- End function
	.section	.AMDGPU.csdata,"",@progbits
; Kernel info:
; codeLenInByte = 304
; NumSgprs: 24
; NumVgprs: 14
; NumAgprs: 0
; TotalNumVgprs: 14
; ScratchSize: 0
; MemoryBound: 0
; FloatMode: 240
; IeeeMode: 1
; LDSByteSize: 0 bytes/workgroup (compile time only)
; SGPRBlocks: 2
; VGPRBlocks: 1
; NumSGPRsForWavesPerEU: 24
; NumVGPRsForWavesPerEU: 14
; AccumOffset: 16
; Occupancy: 8
; WaveLimiterHint : 1
; COMPUTE_PGM_RSRC2:SCRATCH_EN: 0
; COMPUTE_PGM_RSRC2:USER_SGPR: 6
; COMPUTE_PGM_RSRC2:TRAP_HANDLER: 0
; COMPUTE_PGM_RSRC2:TGID_X_EN: 1
; COMPUTE_PGM_RSRC2:TGID_Y_EN: 0
; COMPUTE_PGM_RSRC2:TGID_Z_EN: 0
; COMPUTE_PGM_RSRC2:TIDIG_COMP_CNT: 0
; COMPUTE_PGM_RSRC3_GFX90A:ACCUM_OFFSET: 3
; COMPUTE_PGM_RSRC3_GFX90A:TG_SPLIT: 0
	.section	.text._ZN9rocsparseL16sddmm_ell_kernelILi512ELi8EfiifffEEv20rocsparse_operation_S1_16rocsparse_order_S2_T3_S3_S3_T2_NS_24const_host_device_scalarIT1_EEPKT4_lPKT5_lS7_PT6_PKS3_21rocsparse_index_base_b,"axG",@progbits,_ZN9rocsparseL16sddmm_ell_kernelILi512ELi8EfiifffEEv20rocsparse_operation_S1_16rocsparse_order_S2_T3_S3_S3_T2_NS_24const_host_device_scalarIT1_EEPKT4_lPKT5_lS7_PT6_PKS3_21rocsparse_index_base_b,comdat
	.globl	_ZN9rocsparseL16sddmm_ell_kernelILi512ELi8EfiifffEEv20rocsparse_operation_S1_16rocsparse_order_S2_T3_S3_S3_T2_NS_24const_host_device_scalarIT1_EEPKT4_lPKT5_lS7_PT6_PKS3_21rocsparse_index_base_b ; -- Begin function _ZN9rocsparseL16sddmm_ell_kernelILi512ELi8EfiifffEEv20rocsparse_operation_S1_16rocsparse_order_S2_T3_S3_S3_T2_NS_24const_host_device_scalarIT1_EEPKT4_lPKT5_lS7_PT6_PKS3_21rocsparse_index_base_b
	.p2align	8
	.type	_ZN9rocsparseL16sddmm_ell_kernelILi512ELi8EfiifffEEv20rocsparse_operation_S1_16rocsparse_order_S2_T3_S3_S3_T2_NS_24const_host_device_scalarIT1_EEPKT4_lPKT5_lS7_PT6_PKS3_21rocsparse_index_base_b,@function
_ZN9rocsparseL16sddmm_ell_kernelILi512ELi8EfiifffEEv20rocsparse_operation_S1_16rocsparse_order_S2_T3_S3_S3_T2_NS_24const_host_device_scalarIT1_EEPKT4_lPKT5_lS7_PT6_PKS3_21rocsparse_index_base_b: ; @_ZN9rocsparseL16sddmm_ell_kernelILi512ELi8EfiifffEEv20rocsparse_operation_S1_16rocsparse_order_S2_T3_S3_S3_T2_NS_24const_host_device_scalarIT1_EEPKT4_lPKT5_lS7_PT6_PKS3_21rocsparse_index_base_b
; %bb.0:
	s_load_dwordx2 s[8:9], s[4:5], 0x60
	s_load_dwordx2 s[12:13], s[4:5], 0x20
	s_load_dwordx4 s[0:3], s[4:5], 0x40
	s_waitcnt lgkmcnt(0)
	s_bitcmp1_b32 s9, 0
	s_cselect_b64 s[14:15], -1, 0
	s_xor_b64 s[10:11], s[14:15], -1
	s_and_b64 vcc, exec, s[14:15]
	s_cbranch_vccnz .LBB8_2
; %bb.1:
	s_load_dword s12, s[12:13], 0x0
.LBB8_2:
	s_andn2_b64 vcc, exec, s[10:11]
	s_cbranch_vccnz .LBB8_4
; %bb.3:
	s_load_dword s2, s[2:3], 0x0
.LBB8_4:
	s_waitcnt lgkmcnt(0)
	v_cmp_eq_f32_e64 s[10:11], s12, 0
	v_cmp_eq_f32_e64 s[14:15], s2, 1.0
	s_and_b64 s[10:11], s[10:11], s[14:15]
	s_and_b64 vcc, exec, s[10:11]
	s_cbranch_vccnz .LBB8_35
; %bb.5:
	s_load_dwordx2 s[14:15], s[4:5], 0x18
	v_lshrrev_b32_e32 v10, 3, v0
	v_lshl_or_b32 v6, s6, 6, v10
	s_waitcnt lgkmcnt(0)
	v_cmp_gt_i32_e32 vcc, s15, v6
	s_and_saveexec_b64 s[6:7], vcc
	s_cbranch_execz .LBB8_35
; %bb.6:
	s_load_dwordx2 s[6:7], s[4:5], 0x58
	v_ashrrev_i32_e32 v7, 31, v6
	v_lshlrev_b64 v[2:3], 2, v[6:7]
	s_waitcnt lgkmcnt(0)
	v_mov_b32_e32 v1, s7
	v_add_co_u32_e32 v4, vcc, s6, v2
	v_addc_co_u32_e32 v5, vcc, v1, v3, vcc
	global_load_dword v1, v[4:5], off
	s_waitcnt vmcnt(0)
	v_subrev_u32_e32 v4, s8, v1
	v_cmp_lt_i32_e32 vcc, -1, v4
	s_and_b64 exec, exec, vcc
	s_cbranch_execz .LBB8_35
; %bb.7:
	s_load_dwordx4 s[8:11], s[4:5], 0x0
	s_load_dword s3, s[4:5], 0x10
	v_sub_u32_e32 v5, 0, v6
	v_max_i32_e32 v5, v6, v5
	s_load_dwordx2 s[18:19], s[4:5], 0x30
	s_waitcnt lgkmcnt(0)
	s_cmp_eq_u32 s10, 1
	s_cselect_b64 s[6:7], -1, 0
	s_cmpk_eq_i32 s8, 0x6f
	s_cselect_b64 s[16:17], -1, 0
	s_cmpk_lg_i32 s8, 0x6f
	s_cselect_b64 s[20:21], -1, 0
	s_abs_i32 s3, s3
	v_cvt_f32_u32_e32 v1, s3
	s_sub_i32 s8, 0, s3
	s_cmp_lg_u32 s10, 1
	v_rcp_iflag_f32_e32 v1, v1
	v_mul_f32_e32 v1, 0x4f7ffffe, v1
	v_cvt_u32_f32_e32 v1, v1
	v_mul_lo_u32 v6, s8, v1
	v_mul_hi_u32 v6, v1, v6
	v_add_u32_e32 v1, v1, v6
	v_mul_hi_u32 v1, v5, v1
	v_mul_lo_u32 v1, v1, s3
	v_sub_u32_e32 v1, v5, v1
	v_subrev_u32_e32 v5, s3, v1
	v_cmp_le_u32_e32 vcc, s3, v1
	v_cndmask_b32_e32 v1, v1, v5, vcc
	v_subrev_u32_e32 v5, s3, v1
	v_cmp_le_u32_e32 vcc, s3, v1
	v_cndmask_b32_e32 v1, v1, v5, vcc
	v_xor_b32_e32 v1, v1, v7
	v_sub_u32_e32 v8, v1, v7
	v_ashrrev_i32_e32 v9, 31, v8
	s_cbranch_scc0 .LBB8_11
; %bb.8:
	s_andn2_b64 vcc, exec, s[16:17]
	v_pk_mov_b32 v[6:7], v[8:9], v[8:9] op_sel:[0,1]
	s_cbranch_vccnz .LBB8_10
; %bb.9:
	v_mul_lo_u32 v1, v9, s18
	v_mul_lo_u32 v5, v8, s19
	v_mad_u64_u32 v[6:7], s[22:23], v8, s18, 0
	v_add3_u32 v7, v7, v5, v1
.LBB8_10:
	s_cbranch_execz .LBB8_12
	s_branch .LBB8_15
.LBB8_11:
                                        ; implicit-def: $vgpr6_vgpr7
.LBB8_12:
	s_andn2_b64 vcc, exec, s[20:21]
	s_cbranch_vccnz .LBB8_14
; %bb.13:
	v_mul_lo_u32 v1, v9, s18
	v_mul_lo_u32 v5, v8, s19
	v_mad_u64_u32 v[8:9], s[20:21], v8, s18, 0
	v_add3_u32 v9, v9, v5, v1
.LBB8_14:
	v_pk_mov_b32 v[6:7], v[8:9], v[8:9] op_sel:[0,1]
.LBB8_15:
	s_cmp_eq_u32 s11, 1
	s_cselect_b64 s[20:21], -1, 0
	s_cmpk_eq_i32 s9, 0x6f
	s_cselect_b64 s[22:23], -1, 0
	s_cmpk_lg_i32 s9, 0x6f
	s_cselect_b64 s[8:9], -1, 0
	s_cmp_lg_u32 s11, 1
	v_mov_b32_e32 v5, 0
	s_cbranch_scc0 .LBB8_19
; %bb.16:
	s_andn2_b64 vcc, exec, s[8:9]
	v_pk_mov_b32 v[8:9], v[4:5], v[4:5] op_sel:[0,1]
	s_cbranch_vccnz .LBB8_18
; %bb.17:
	v_mad_u64_u32 v[8:9], s[8:9], v4, s0, 0
	v_mov_b32_e32 v12, v9
	v_mad_u64_u32 v[12:13], s[8:9], v4, s1, v[12:13]
	v_mov_b32_e32 v9, v12
.LBB8_18:
	s_cbranch_execz .LBB8_20
	s_branch .LBB8_23
.LBB8_19:
                                        ; implicit-def: $vgpr8_vgpr9
.LBB8_20:
	s_andn2_b64 vcc, exec, s[22:23]
	s_cbranch_vccnz .LBB8_22
; %bb.21:
	v_mad_u64_u32 v[8:9], s[8:9], v4, s0, 0
	v_mov_b32_e32 v12, v9
	v_mad_u64_u32 v[4:5], s[8:9], v4, s1, v[12:13]
	v_mov_b32_e32 v9, v4
	v_pk_mov_b32 v[4:5], v[8:9], v[8:9] op_sel:[0,1]
.LBB8_22:
	v_pk_mov_b32 v[8:9], v[4:5], v[4:5] op_sel:[0,1]
.LBB8_23:
	s_load_dwordx2 s[8:9], s[4:5], 0x50
	v_and_b32_e32 v11, 7, v0
	v_cmp_gt_i32_e32 vcc, s14, v11
	v_mov_b32_e32 v12, 0
	s_and_saveexec_b64 s[10:11], vcc
	s_cbranch_execz .LBB8_27
; %bb.24:
	s_load_dwordx2 s[24:25], s[4:5], 0x28
	s_load_dwordx2 s[26:27], s[4:5], 0x38
	s_xor_b64 s[4:5], s[16:17], s[6:7]
	s_and_b64 s[4:5], s[4:5], exec
	s_cselect_b32 s5, 0, s19
	s_cselect_b32 s4, 1, s18
	s_xor_b64 s[6:7], s[22:23], s[20:21]
	s_and_b64 s[6:7], s[6:7], exec
	v_and_b32_e32 v12, 7, v0
	s_cselect_b32 s7, s1, 0
	s_cselect_b32 s6, s0, 1
	v_mad_u64_u32 v[0:1], s[0:1], s4, v12, 0
	v_mov_b32_e32 v4, v1
	v_mad_u64_u32 v[4:5], s[0:1], s5, v12, v[4:5]
	v_mov_b32_e32 v1, v4
	v_lshlrev_b64 v[0:1], 2, v[0:1]
	v_lshlrev_b64 v[4:5], 2, v[6:7]
	v_add_co_u32_e32 v0, vcc, v0, v4
	v_addc_co_u32_e32 v1, vcc, v1, v5, vcc
	s_waitcnt lgkmcnt(0)
	v_mov_b32_e32 v4, s25
	v_add_co_u32_e32 v0, vcc, s24, v0
	v_addc_co_u32_e32 v1, vcc, v4, v1, vcc
	s_lshl_b64 s[0:1], s[4:5], 5
	v_mad_u64_u32 v[4:5], s[4:5], s6, v12, 0
	v_mov_b32_e32 v6, v5
	v_mad_u64_u32 v[6:7], s[4:5], s7, v12, v[6:7]
	v_mov_b32_e32 v5, v6
	v_lshlrev_b64 v[4:5], 2, v[4:5]
	v_lshlrev_b64 v[6:7], 2, v[8:9]
	v_add_co_u32_e32 v4, vcc, v4, v6
	v_addc_co_u32_e32 v5, vcc, v5, v7, vcc
	v_mov_b32_e32 v6, s27
	v_add_co_u32_e32 v4, vcc, s26, v4
	s_lshl_b64 s[6:7], s[6:7], 5
	v_addc_co_u32_e32 v5, vcc, v6, v5, vcc
	s_mov_b64 s[4:5], 0
	v_mov_b32_e32 v12, 0
	v_mov_b32_e32 v6, s1
	;; [unrolled: 1-line block ×4, first 2 shown]
.LBB8_25:                               ; =>This Inner Loop Header: Depth=1
	global_load_dword v9, v[0:1], off
	global_load_dword v13, v[4:5], off
	v_add_co_u32_e32 v0, vcc, s0, v0
	v_addc_co_u32_e32 v1, vcc, v1, v6, vcc
	v_add_co_u32_e32 v4, vcc, s6, v4
	v_add_u32_e32 v8, 8, v8
	v_addc_co_u32_e32 v5, vcc, v5, v7, vcc
	v_cmp_le_i32_e32 vcc, s14, v8
	s_or_b64 s[4:5], vcc, s[4:5]
	s_waitcnt vmcnt(0)
	v_fmac_f32_e32 v12, v9, v13
	s_andn2_b64 exec, exec, s[4:5]
	s_cbranch_execnz .LBB8_25
; %bb.26:
	s_or_b64 exec, exec, s[4:5]
.LBB8_27:
	s_or_b64 exec, exec, s[10:11]
	v_lshlrev_b32_e32 v0, 2, v11
	v_lshl_or_b32 v0, v10, 5, v0
	v_cmp_gt_u32_e32 vcc, 4, v11
	ds_write_b32 v0, v12
	s_waitcnt lgkmcnt(0)
	s_barrier
	s_and_saveexec_b64 s[0:1], vcc
	s_cbranch_execz .LBB8_29
; %bb.28:
	ds_read2_b32 v[4:5], v0 offset1:4
	s_waitcnt lgkmcnt(0)
	v_add_f32_e32 v1, v5, v4
	ds_write_b32 v0, v1
.LBB8_29:
	s_or_b64 exec, exec, s[0:1]
	v_cmp_gt_u32_e32 vcc, 2, v11
	s_waitcnt lgkmcnt(0)
	s_barrier
	s_and_saveexec_b64 s[0:1], vcc
	s_cbranch_execz .LBB8_31
; %bb.30:
	ds_read2_b32 v[4:5], v0 offset1:2
	s_waitcnt lgkmcnt(0)
	v_add_f32_e32 v1, v5, v4
	ds_write_b32 v0, v1
.LBB8_31:
	s_or_b64 exec, exec, s[0:1]
	v_cmp_eq_u32_e32 vcc, 0, v11
	v_lshlrev_b32_e32 v1, 5, v10
	s_waitcnt lgkmcnt(0)
	s_barrier
	s_and_saveexec_b64 s[0:1], vcc
	s_cbranch_execz .LBB8_33
; %bb.32:
	ds_read_b32 v4, v1 offset:4
	ds_read_b32 v5, v0
	s_waitcnt lgkmcnt(0)
	v_add_f32_e32 v4, v4, v5
	ds_write_b32 v0, v4
.LBB8_33:
	s_or_b64 exec, exec, s[0:1]
	s_waitcnt lgkmcnt(0)
	s_barrier
	s_and_b64 exec, exec, vcc
	s_cbranch_execz .LBB8_35
; %bb.34:
	v_mov_b32_e32 v0, s9
	v_add_co_u32_e32 v2, vcc, s8, v2
	v_addc_co_u32_e32 v3, vcc, v0, v3, vcc
	global_load_dword v0, v[2:3], off
	ds_read_b32 v1, v1
	s_waitcnt lgkmcnt(0)
	v_mul_f32_e32 v1, s12, v1
	s_waitcnt vmcnt(0)
	v_fmac_f32_e32 v1, s2, v0
	global_store_dword v[2:3], v1, off
.LBB8_35:
	s_endpgm
	.section	.rodata,"a",@progbits
	.p2align	6, 0x0
	.amdhsa_kernel _ZN9rocsparseL16sddmm_ell_kernelILi512ELi8EfiifffEEv20rocsparse_operation_S1_16rocsparse_order_S2_T3_S3_S3_T2_NS_24const_host_device_scalarIT1_EEPKT4_lPKT5_lS7_PT6_PKS3_21rocsparse_index_base_b
		.amdhsa_group_segment_fixed_size 2048
		.amdhsa_private_segment_fixed_size 0
		.amdhsa_kernarg_size 104
		.amdhsa_user_sgpr_count 6
		.amdhsa_user_sgpr_private_segment_buffer 1
		.amdhsa_user_sgpr_dispatch_ptr 0
		.amdhsa_user_sgpr_queue_ptr 0
		.amdhsa_user_sgpr_kernarg_segment_ptr 1
		.amdhsa_user_sgpr_dispatch_id 0
		.amdhsa_user_sgpr_flat_scratch_init 0
		.amdhsa_user_sgpr_kernarg_preload_length 0
		.amdhsa_user_sgpr_kernarg_preload_offset 0
		.amdhsa_user_sgpr_private_segment_size 0
		.amdhsa_uses_dynamic_stack 0
		.amdhsa_system_sgpr_private_segment_wavefront_offset 0
		.amdhsa_system_sgpr_workgroup_id_x 1
		.amdhsa_system_sgpr_workgroup_id_y 0
		.amdhsa_system_sgpr_workgroup_id_z 0
		.amdhsa_system_sgpr_workgroup_info 0
		.amdhsa_system_vgpr_workitem_id 0
		.amdhsa_next_free_vgpr 14
		.amdhsa_next_free_sgpr 28
		.amdhsa_accum_offset 16
		.amdhsa_reserve_vcc 1
		.amdhsa_reserve_flat_scratch 0
		.amdhsa_float_round_mode_32 0
		.amdhsa_float_round_mode_16_64 0
		.amdhsa_float_denorm_mode_32 3
		.amdhsa_float_denorm_mode_16_64 3
		.amdhsa_dx10_clamp 1
		.amdhsa_ieee_mode 1
		.amdhsa_fp16_overflow 0
		.amdhsa_tg_split 0
		.amdhsa_exception_fp_ieee_invalid_op 0
		.amdhsa_exception_fp_denorm_src 0
		.amdhsa_exception_fp_ieee_div_zero 0
		.amdhsa_exception_fp_ieee_overflow 0
		.amdhsa_exception_fp_ieee_underflow 0
		.amdhsa_exception_fp_ieee_inexact 0
		.amdhsa_exception_int_div_zero 0
	.end_amdhsa_kernel
	.section	.text._ZN9rocsparseL16sddmm_ell_kernelILi512ELi8EfiifffEEv20rocsparse_operation_S1_16rocsparse_order_S2_T3_S3_S3_T2_NS_24const_host_device_scalarIT1_EEPKT4_lPKT5_lS7_PT6_PKS3_21rocsparse_index_base_b,"axG",@progbits,_ZN9rocsparseL16sddmm_ell_kernelILi512ELi8EfiifffEEv20rocsparse_operation_S1_16rocsparse_order_S2_T3_S3_S3_T2_NS_24const_host_device_scalarIT1_EEPKT4_lPKT5_lS7_PT6_PKS3_21rocsparse_index_base_b,comdat
.Lfunc_end8:
	.size	_ZN9rocsparseL16sddmm_ell_kernelILi512ELi8EfiifffEEv20rocsparse_operation_S1_16rocsparse_order_S2_T3_S3_S3_T2_NS_24const_host_device_scalarIT1_EEPKT4_lPKT5_lS7_PT6_PKS3_21rocsparse_index_base_b, .Lfunc_end8-_ZN9rocsparseL16sddmm_ell_kernelILi512ELi8EfiifffEEv20rocsparse_operation_S1_16rocsparse_order_S2_T3_S3_S3_T2_NS_24const_host_device_scalarIT1_EEPKT4_lPKT5_lS7_PT6_PKS3_21rocsparse_index_base_b
                                        ; -- End function
	.section	.AMDGPU.csdata,"",@progbits
; Kernel info:
; codeLenInByte = 1160
; NumSgprs: 32
; NumVgprs: 14
; NumAgprs: 0
; TotalNumVgprs: 14
; ScratchSize: 0
; MemoryBound: 0
; FloatMode: 240
; IeeeMode: 1
; LDSByteSize: 2048 bytes/workgroup (compile time only)
; SGPRBlocks: 3
; VGPRBlocks: 1
; NumSGPRsForWavesPerEU: 32
; NumVGPRsForWavesPerEU: 14
; AccumOffset: 16
; Occupancy: 8
; WaveLimiterHint : 0
; COMPUTE_PGM_RSRC2:SCRATCH_EN: 0
; COMPUTE_PGM_RSRC2:USER_SGPR: 6
; COMPUTE_PGM_RSRC2:TRAP_HANDLER: 0
; COMPUTE_PGM_RSRC2:TGID_X_EN: 1
; COMPUTE_PGM_RSRC2:TGID_Y_EN: 0
; COMPUTE_PGM_RSRC2:TGID_Z_EN: 0
; COMPUTE_PGM_RSRC2:TIDIG_COMP_CNT: 0
; COMPUTE_PGM_RSRC3_GFX90A:ACCUM_OFFSET: 3
; COMPUTE_PGM_RSRC3_GFX90A:TG_SPLIT: 0
	.section	.text._ZN9rocsparseL16sddmm_ell_kernelILi512ELi4EfiifffEEv20rocsparse_operation_S1_16rocsparse_order_S2_T3_S3_S3_T2_NS_24const_host_device_scalarIT1_EEPKT4_lPKT5_lS7_PT6_PKS3_21rocsparse_index_base_b,"axG",@progbits,_ZN9rocsparseL16sddmm_ell_kernelILi512ELi4EfiifffEEv20rocsparse_operation_S1_16rocsparse_order_S2_T3_S3_S3_T2_NS_24const_host_device_scalarIT1_EEPKT4_lPKT5_lS7_PT6_PKS3_21rocsparse_index_base_b,comdat
	.globl	_ZN9rocsparseL16sddmm_ell_kernelILi512ELi4EfiifffEEv20rocsparse_operation_S1_16rocsparse_order_S2_T3_S3_S3_T2_NS_24const_host_device_scalarIT1_EEPKT4_lPKT5_lS7_PT6_PKS3_21rocsparse_index_base_b ; -- Begin function _ZN9rocsparseL16sddmm_ell_kernelILi512ELi4EfiifffEEv20rocsparse_operation_S1_16rocsparse_order_S2_T3_S3_S3_T2_NS_24const_host_device_scalarIT1_EEPKT4_lPKT5_lS7_PT6_PKS3_21rocsparse_index_base_b
	.p2align	8
	.type	_ZN9rocsparseL16sddmm_ell_kernelILi512ELi4EfiifffEEv20rocsparse_operation_S1_16rocsparse_order_S2_T3_S3_S3_T2_NS_24const_host_device_scalarIT1_EEPKT4_lPKT5_lS7_PT6_PKS3_21rocsparse_index_base_b,@function
_ZN9rocsparseL16sddmm_ell_kernelILi512ELi4EfiifffEEv20rocsparse_operation_S1_16rocsparse_order_S2_T3_S3_S3_T2_NS_24const_host_device_scalarIT1_EEPKT4_lPKT5_lS7_PT6_PKS3_21rocsparse_index_base_b: ; @_ZN9rocsparseL16sddmm_ell_kernelILi512ELi4EfiifffEEv20rocsparse_operation_S1_16rocsparse_order_S2_T3_S3_S3_T2_NS_24const_host_device_scalarIT1_EEPKT4_lPKT5_lS7_PT6_PKS3_21rocsparse_index_base_b
; %bb.0:
	s_load_dwordx2 s[8:9], s[4:5], 0x60
	s_load_dwordx2 s[12:13], s[4:5], 0x20
	s_load_dwordx4 s[0:3], s[4:5], 0x40
	s_waitcnt lgkmcnt(0)
	s_bitcmp1_b32 s9, 0
	s_cselect_b64 s[14:15], -1, 0
	s_xor_b64 s[10:11], s[14:15], -1
	s_and_b64 vcc, exec, s[14:15]
	s_cbranch_vccnz .LBB9_2
; %bb.1:
	s_load_dword s12, s[12:13], 0x0
.LBB9_2:
	s_andn2_b64 vcc, exec, s[10:11]
	s_cbranch_vccnz .LBB9_4
; %bb.3:
	s_load_dword s2, s[2:3], 0x0
.LBB9_4:
	s_waitcnt lgkmcnt(0)
	v_cmp_eq_f32_e64 s[10:11], s12, 0
	v_cmp_eq_f32_e64 s[14:15], s2, 1.0
	s_and_b64 s[10:11], s[10:11], s[14:15]
	s_and_b64 vcc, exec, s[10:11]
	s_cbranch_vccnz .LBB9_33
; %bb.5:
	s_load_dwordx2 s[14:15], s[4:5], 0x18
	v_lshrrev_b32_e32 v10, 2, v0
	v_lshl_or_b32 v6, s6, 7, v10
	s_waitcnt lgkmcnt(0)
	v_cmp_gt_i32_e32 vcc, s15, v6
	s_and_saveexec_b64 s[6:7], vcc
	s_cbranch_execz .LBB9_33
; %bb.6:
	s_load_dwordx2 s[6:7], s[4:5], 0x58
	v_ashrrev_i32_e32 v7, 31, v6
	v_lshlrev_b64 v[2:3], 2, v[6:7]
	s_waitcnt lgkmcnt(0)
	v_mov_b32_e32 v1, s7
	v_add_co_u32_e32 v4, vcc, s6, v2
	v_addc_co_u32_e32 v5, vcc, v1, v3, vcc
	global_load_dword v1, v[4:5], off
	s_waitcnt vmcnt(0)
	v_subrev_u32_e32 v4, s8, v1
	v_cmp_lt_i32_e32 vcc, -1, v4
	s_and_b64 exec, exec, vcc
	s_cbranch_execz .LBB9_33
; %bb.7:
	s_load_dwordx4 s[8:11], s[4:5], 0x0
	s_load_dword s3, s[4:5], 0x10
	v_sub_u32_e32 v5, 0, v6
	v_max_i32_e32 v5, v6, v5
	s_load_dwordx2 s[18:19], s[4:5], 0x30
	s_waitcnt lgkmcnt(0)
	s_cmp_eq_u32 s10, 1
	s_cselect_b64 s[6:7], -1, 0
	s_cmpk_eq_i32 s8, 0x6f
	s_cselect_b64 s[16:17], -1, 0
	s_cmpk_lg_i32 s8, 0x6f
	s_cselect_b64 s[20:21], -1, 0
	s_abs_i32 s3, s3
	v_cvt_f32_u32_e32 v1, s3
	s_sub_i32 s8, 0, s3
	s_cmp_lg_u32 s10, 1
	v_rcp_iflag_f32_e32 v1, v1
	v_mul_f32_e32 v1, 0x4f7ffffe, v1
	v_cvt_u32_f32_e32 v1, v1
	v_mul_lo_u32 v6, s8, v1
	v_mul_hi_u32 v6, v1, v6
	v_add_u32_e32 v1, v1, v6
	v_mul_hi_u32 v1, v5, v1
	v_mul_lo_u32 v1, v1, s3
	v_sub_u32_e32 v1, v5, v1
	v_subrev_u32_e32 v5, s3, v1
	v_cmp_le_u32_e32 vcc, s3, v1
	v_cndmask_b32_e32 v1, v1, v5, vcc
	v_subrev_u32_e32 v5, s3, v1
	v_cmp_le_u32_e32 vcc, s3, v1
	v_cndmask_b32_e32 v1, v1, v5, vcc
	v_xor_b32_e32 v1, v1, v7
	v_sub_u32_e32 v8, v1, v7
	v_ashrrev_i32_e32 v9, 31, v8
	s_cbranch_scc0 .LBB9_11
; %bb.8:
	s_andn2_b64 vcc, exec, s[16:17]
	v_pk_mov_b32 v[6:7], v[8:9], v[8:9] op_sel:[0,1]
	s_cbranch_vccnz .LBB9_10
; %bb.9:
	v_mul_lo_u32 v1, v9, s18
	v_mul_lo_u32 v5, v8, s19
	v_mad_u64_u32 v[6:7], s[22:23], v8, s18, 0
	v_add3_u32 v7, v7, v5, v1
.LBB9_10:
	s_cbranch_execz .LBB9_12
	s_branch .LBB9_15
.LBB9_11:
                                        ; implicit-def: $vgpr6_vgpr7
.LBB9_12:
	s_andn2_b64 vcc, exec, s[20:21]
	s_cbranch_vccnz .LBB9_14
; %bb.13:
	v_mul_lo_u32 v1, v9, s18
	v_mul_lo_u32 v5, v8, s19
	v_mad_u64_u32 v[8:9], s[20:21], v8, s18, 0
	v_add3_u32 v9, v9, v5, v1
.LBB9_14:
	v_pk_mov_b32 v[6:7], v[8:9], v[8:9] op_sel:[0,1]
.LBB9_15:
	s_cmp_eq_u32 s11, 1
	s_cselect_b64 s[20:21], -1, 0
	s_cmpk_eq_i32 s9, 0x6f
	s_cselect_b64 s[22:23], -1, 0
	s_cmpk_lg_i32 s9, 0x6f
	s_cselect_b64 s[8:9], -1, 0
	s_cmp_lg_u32 s11, 1
	v_mov_b32_e32 v5, 0
	s_cbranch_scc0 .LBB9_19
; %bb.16:
	s_andn2_b64 vcc, exec, s[8:9]
	v_pk_mov_b32 v[8:9], v[4:5], v[4:5] op_sel:[0,1]
	s_cbranch_vccnz .LBB9_18
; %bb.17:
	v_mad_u64_u32 v[8:9], s[8:9], v4, s0, 0
	v_mov_b32_e32 v12, v9
	v_mad_u64_u32 v[12:13], s[8:9], v4, s1, v[12:13]
	v_mov_b32_e32 v9, v12
.LBB9_18:
	s_cbranch_execz .LBB9_20
	s_branch .LBB9_23
.LBB9_19:
                                        ; implicit-def: $vgpr8_vgpr9
.LBB9_20:
	s_andn2_b64 vcc, exec, s[22:23]
	s_cbranch_vccnz .LBB9_22
; %bb.21:
	v_mad_u64_u32 v[8:9], s[8:9], v4, s0, 0
	v_mov_b32_e32 v12, v9
	v_mad_u64_u32 v[4:5], s[8:9], v4, s1, v[12:13]
	v_mov_b32_e32 v9, v4
	v_pk_mov_b32 v[4:5], v[8:9], v[8:9] op_sel:[0,1]
.LBB9_22:
	v_pk_mov_b32 v[8:9], v[4:5], v[4:5] op_sel:[0,1]
.LBB9_23:
	s_load_dwordx2 s[8:9], s[4:5], 0x50
	v_and_b32_e32 v11, 3, v0
	v_cmp_gt_i32_e32 vcc, s14, v11
	v_mov_b32_e32 v12, 0
	s_and_saveexec_b64 s[10:11], vcc
	s_cbranch_execz .LBB9_27
; %bb.24:
	s_load_dwordx2 s[24:25], s[4:5], 0x28
	s_load_dwordx2 s[26:27], s[4:5], 0x38
	s_xor_b64 s[4:5], s[16:17], s[6:7]
	s_and_b64 s[4:5], s[4:5], exec
	s_cselect_b32 s5, 0, s19
	s_cselect_b32 s4, 1, s18
	s_xor_b64 s[6:7], s[22:23], s[20:21]
	s_and_b64 s[6:7], s[6:7], exec
	v_and_b32_e32 v12, 3, v0
	s_cselect_b32 s7, s1, 0
	s_cselect_b32 s6, s0, 1
	v_mad_u64_u32 v[0:1], s[0:1], s4, v12, 0
	v_mov_b32_e32 v4, v1
	v_mad_u64_u32 v[4:5], s[0:1], s5, v12, v[4:5]
	v_mov_b32_e32 v1, v4
	v_lshlrev_b64 v[0:1], 2, v[0:1]
	v_lshlrev_b64 v[4:5], 2, v[6:7]
	v_add_co_u32_e32 v0, vcc, v0, v4
	v_addc_co_u32_e32 v1, vcc, v1, v5, vcc
	s_waitcnt lgkmcnt(0)
	v_mov_b32_e32 v4, s25
	v_add_co_u32_e32 v0, vcc, s24, v0
	v_addc_co_u32_e32 v1, vcc, v4, v1, vcc
	s_lshl_b64 s[0:1], s[4:5], 4
	v_mad_u64_u32 v[4:5], s[4:5], s6, v12, 0
	v_mov_b32_e32 v6, v5
	v_mad_u64_u32 v[6:7], s[4:5], s7, v12, v[6:7]
	v_mov_b32_e32 v5, v6
	v_lshlrev_b64 v[4:5], 2, v[4:5]
	v_lshlrev_b64 v[6:7], 2, v[8:9]
	v_add_co_u32_e32 v4, vcc, v4, v6
	v_addc_co_u32_e32 v5, vcc, v5, v7, vcc
	v_mov_b32_e32 v6, s27
	v_add_co_u32_e32 v4, vcc, s26, v4
	s_lshl_b64 s[6:7], s[6:7], 4
	v_addc_co_u32_e32 v5, vcc, v6, v5, vcc
	s_mov_b64 s[4:5], 0
	v_mov_b32_e32 v12, 0
	v_mov_b32_e32 v6, s1
	v_mov_b32_e32 v7, s7
	v_mov_b32_e32 v8, v11
.LBB9_25:                               ; =>This Inner Loop Header: Depth=1
	global_load_dword v9, v[0:1], off
	global_load_dword v13, v[4:5], off
	v_add_co_u32_e32 v0, vcc, s0, v0
	v_addc_co_u32_e32 v1, vcc, v1, v6, vcc
	v_add_co_u32_e32 v4, vcc, s6, v4
	v_add_u32_e32 v8, 4, v8
	v_addc_co_u32_e32 v5, vcc, v5, v7, vcc
	v_cmp_le_i32_e32 vcc, s14, v8
	s_or_b64 s[4:5], vcc, s[4:5]
	s_waitcnt vmcnt(0)
	v_fmac_f32_e32 v12, v9, v13
	s_andn2_b64 exec, exec, s[4:5]
	s_cbranch_execnz .LBB9_25
; %bb.26:
	s_or_b64 exec, exec, s[4:5]
.LBB9_27:
	s_or_b64 exec, exec, s[10:11]
	v_lshlrev_b32_e32 v0, 2, v11
	v_lshl_or_b32 v0, v10, 4, v0
	v_cmp_gt_u32_e32 vcc, 2, v11
	ds_write_b32 v0, v12
	s_waitcnt lgkmcnt(0)
	s_barrier
	s_and_saveexec_b64 s[0:1], vcc
	s_cbranch_execz .LBB9_29
; %bb.28:
	ds_read2_b32 v[4:5], v0 offset1:2
	s_waitcnt lgkmcnt(0)
	v_add_f32_e32 v1, v5, v4
	ds_write_b32 v0, v1
.LBB9_29:
	s_or_b64 exec, exec, s[0:1]
	v_cmp_eq_u32_e32 vcc, 0, v11
	v_lshlrev_b32_e32 v1, 4, v10
	s_waitcnt lgkmcnt(0)
	s_barrier
	s_and_saveexec_b64 s[0:1], vcc
	s_cbranch_execz .LBB9_31
; %bb.30:
	ds_read_b32 v4, v1 offset:4
	ds_read_b32 v5, v0
	s_waitcnt lgkmcnt(0)
	v_add_f32_e32 v4, v4, v5
	ds_write_b32 v0, v4
.LBB9_31:
	s_or_b64 exec, exec, s[0:1]
	s_waitcnt lgkmcnt(0)
	s_barrier
	s_and_b64 exec, exec, vcc
	s_cbranch_execz .LBB9_33
; %bb.32:
	v_mov_b32_e32 v0, s9
	v_add_co_u32_e32 v2, vcc, s8, v2
	v_addc_co_u32_e32 v3, vcc, v0, v3, vcc
	global_load_dword v0, v[2:3], off
	ds_read_b32 v1, v1
	s_waitcnt lgkmcnt(0)
	v_mul_f32_e32 v1, s12, v1
	s_waitcnt vmcnt(0)
	v_fmac_f32_e32 v1, s2, v0
	global_store_dword v[2:3], v1, off
.LBB9_33:
	s_endpgm
	.section	.rodata,"a",@progbits
	.p2align	6, 0x0
	.amdhsa_kernel _ZN9rocsparseL16sddmm_ell_kernelILi512ELi4EfiifffEEv20rocsparse_operation_S1_16rocsparse_order_S2_T3_S3_S3_T2_NS_24const_host_device_scalarIT1_EEPKT4_lPKT5_lS7_PT6_PKS3_21rocsparse_index_base_b
		.amdhsa_group_segment_fixed_size 2048
		.amdhsa_private_segment_fixed_size 0
		.amdhsa_kernarg_size 104
		.amdhsa_user_sgpr_count 6
		.amdhsa_user_sgpr_private_segment_buffer 1
		.amdhsa_user_sgpr_dispatch_ptr 0
		.amdhsa_user_sgpr_queue_ptr 0
		.amdhsa_user_sgpr_kernarg_segment_ptr 1
		.amdhsa_user_sgpr_dispatch_id 0
		.amdhsa_user_sgpr_flat_scratch_init 0
		.amdhsa_user_sgpr_kernarg_preload_length 0
		.amdhsa_user_sgpr_kernarg_preload_offset 0
		.amdhsa_user_sgpr_private_segment_size 0
		.amdhsa_uses_dynamic_stack 0
		.amdhsa_system_sgpr_private_segment_wavefront_offset 0
		.amdhsa_system_sgpr_workgroup_id_x 1
		.amdhsa_system_sgpr_workgroup_id_y 0
		.amdhsa_system_sgpr_workgroup_id_z 0
		.amdhsa_system_sgpr_workgroup_info 0
		.amdhsa_system_vgpr_workitem_id 0
		.amdhsa_next_free_vgpr 14
		.amdhsa_next_free_sgpr 28
		.amdhsa_accum_offset 16
		.amdhsa_reserve_vcc 1
		.amdhsa_reserve_flat_scratch 0
		.amdhsa_float_round_mode_32 0
		.amdhsa_float_round_mode_16_64 0
		.amdhsa_float_denorm_mode_32 3
		.amdhsa_float_denorm_mode_16_64 3
		.amdhsa_dx10_clamp 1
		.amdhsa_ieee_mode 1
		.amdhsa_fp16_overflow 0
		.amdhsa_tg_split 0
		.amdhsa_exception_fp_ieee_invalid_op 0
		.amdhsa_exception_fp_denorm_src 0
		.amdhsa_exception_fp_ieee_div_zero 0
		.amdhsa_exception_fp_ieee_overflow 0
		.amdhsa_exception_fp_ieee_underflow 0
		.amdhsa_exception_fp_ieee_inexact 0
		.amdhsa_exception_int_div_zero 0
	.end_amdhsa_kernel
	.section	.text._ZN9rocsparseL16sddmm_ell_kernelILi512ELi4EfiifffEEv20rocsparse_operation_S1_16rocsparse_order_S2_T3_S3_S3_T2_NS_24const_host_device_scalarIT1_EEPKT4_lPKT5_lS7_PT6_PKS3_21rocsparse_index_base_b,"axG",@progbits,_ZN9rocsparseL16sddmm_ell_kernelILi512ELi4EfiifffEEv20rocsparse_operation_S1_16rocsparse_order_S2_T3_S3_S3_T2_NS_24const_host_device_scalarIT1_EEPKT4_lPKT5_lS7_PT6_PKS3_21rocsparse_index_base_b,comdat
.Lfunc_end9:
	.size	_ZN9rocsparseL16sddmm_ell_kernelILi512ELi4EfiifffEEv20rocsparse_operation_S1_16rocsparse_order_S2_T3_S3_S3_T2_NS_24const_host_device_scalarIT1_EEPKT4_lPKT5_lS7_PT6_PKS3_21rocsparse_index_base_b, .Lfunc_end9-_ZN9rocsparseL16sddmm_ell_kernelILi512ELi4EfiifffEEv20rocsparse_operation_S1_16rocsparse_order_S2_T3_S3_S3_T2_NS_24const_host_device_scalarIT1_EEPKT4_lPKT5_lS7_PT6_PKS3_21rocsparse_index_base_b
                                        ; -- End function
	.section	.AMDGPU.csdata,"",@progbits
; Kernel info:
; codeLenInByte = 1112
; NumSgprs: 32
; NumVgprs: 14
; NumAgprs: 0
; TotalNumVgprs: 14
; ScratchSize: 0
; MemoryBound: 0
; FloatMode: 240
; IeeeMode: 1
; LDSByteSize: 2048 bytes/workgroup (compile time only)
; SGPRBlocks: 3
; VGPRBlocks: 1
; NumSGPRsForWavesPerEU: 32
; NumVGPRsForWavesPerEU: 14
; AccumOffset: 16
; Occupancy: 8
; WaveLimiterHint : 0
; COMPUTE_PGM_RSRC2:SCRATCH_EN: 0
; COMPUTE_PGM_RSRC2:USER_SGPR: 6
; COMPUTE_PGM_RSRC2:TRAP_HANDLER: 0
; COMPUTE_PGM_RSRC2:TGID_X_EN: 1
; COMPUTE_PGM_RSRC2:TGID_Y_EN: 0
; COMPUTE_PGM_RSRC2:TGID_Z_EN: 0
; COMPUTE_PGM_RSRC2:TIDIG_COMP_CNT: 0
; COMPUTE_PGM_RSRC3_GFX90A:ACCUM_OFFSET: 3
; COMPUTE_PGM_RSRC3_GFX90A:TG_SPLIT: 0
	.section	.text._ZN9rocsparseL16sddmm_ell_kernelILi512ELi2EfiifffEEv20rocsparse_operation_S1_16rocsparse_order_S2_T3_S3_S3_T2_NS_24const_host_device_scalarIT1_EEPKT4_lPKT5_lS7_PT6_PKS3_21rocsparse_index_base_b,"axG",@progbits,_ZN9rocsparseL16sddmm_ell_kernelILi512ELi2EfiifffEEv20rocsparse_operation_S1_16rocsparse_order_S2_T3_S3_S3_T2_NS_24const_host_device_scalarIT1_EEPKT4_lPKT5_lS7_PT6_PKS3_21rocsparse_index_base_b,comdat
	.globl	_ZN9rocsparseL16sddmm_ell_kernelILi512ELi2EfiifffEEv20rocsparse_operation_S1_16rocsparse_order_S2_T3_S3_S3_T2_NS_24const_host_device_scalarIT1_EEPKT4_lPKT5_lS7_PT6_PKS3_21rocsparse_index_base_b ; -- Begin function _ZN9rocsparseL16sddmm_ell_kernelILi512ELi2EfiifffEEv20rocsparse_operation_S1_16rocsparse_order_S2_T3_S3_S3_T2_NS_24const_host_device_scalarIT1_EEPKT4_lPKT5_lS7_PT6_PKS3_21rocsparse_index_base_b
	.p2align	8
	.type	_ZN9rocsparseL16sddmm_ell_kernelILi512ELi2EfiifffEEv20rocsparse_operation_S1_16rocsparse_order_S2_T3_S3_S3_T2_NS_24const_host_device_scalarIT1_EEPKT4_lPKT5_lS7_PT6_PKS3_21rocsparse_index_base_b,@function
_ZN9rocsparseL16sddmm_ell_kernelILi512ELi2EfiifffEEv20rocsparse_operation_S1_16rocsparse_order_S2_T3_S3_S3_T2_NS_24const_host_device_scalarIT1_EEPKT4_lPKT5_lS7_PT6_PKS3_21rocsparse_index_base_b: ; @_ZN9rocsparseL16sddmm_ell_kernelILi512ELi2EfiifffEEv20rocsparse_operation_S1_16rocsparse_order_S2_T3_S3_S3_T2_NS_24const_host_device_scalarIT1_EEPKT4_lPKT5_lS7_PT6_PKS3_21rocsparse_index_base_b
; %bb.0:
	s_load_dwordx2 s[8:9], s[4:5], 0x60
	s_load_dwordx2 s[12:13], s[4:5], 0x20
	s_load_dwordx4 s[0:3], s[4:5], 0x40
	s_waitcnt lgkmcnt(0)
	s_bitcmp1_b32 s9, 0
	s_cselect_b64 s[14:15], -1, 0
	s_xor_b64 s[10:11], s[14:15], -1
	s_and_b64 vcc, exec, s[14:15]
	s_cbranch_vccnz .LBB10_2
; %bb.1:
	s_load_dword s12, s[12:13], 0x0
.LBB10_2:
	s_andn2_b64 vcc, exec, s[10:11]
	s_cbranch_vccnz .LBB10_4
; %bb.3:
	s_load_dword s2, s[2:3], 0x0
.LBB10_4:
	s_waitcnt lgkmcnt(0)
	v_cmp_eq_f32_e64 s[10:11], s12, 0
	v_cmp_eq_f32_e64 s[14:15], s2, 1.0
	s_and_b64 s[10:11], s[10:11], s[14:15]
	s_and_b64 vcc, exec, s[10:11]
	s_cbranch_vccnz .LBB10_31
; %bb.5:
	s_load_dwordx2 s[14:15], s[4:5], 0x18
	v_lshrrev_b32_e32 v10, 1, v0
	v_lshl_or_b32 v6, s6, 8, v10
	s_waitcnt lgkmcnt(0)
	v_cmp_gt_i32_e32 vcc, s15, v6
	s_and_saveexec_b64 s[6:7], vcc
	s_cbranch_execz .LBB10_31
; %bb.6:
	s_load_dwordx2 s[6:7], s[4:5], 0x58
	v_ashrrev_i32_e32 v7, 31, v6
	v_lshlrev_b64 v[2:3], 2, v[6:7]
	s_waitcnt lgkmcnt(0)
	v_mov_b32_e32 v1, s7
	v_add_co_u32_e32 v4, vcc, s6, v2
	v_addc_co_u32_e32 v5, vcc, v1, v3, vcc
	global_load_dword v1, v[4:5], off
	s_waitcnt vmcnt(0)
	v_subrev_u32_e32 v4, s8, v1
	v_cmp_lt_i32_e32 vcc, -1, v4
	s_and_b64 exec, exec, vcc
	s_cbranch_execz .LBB10_31
; %bb.7:
	s_load_dwordx4 s[8:11], s[4:5], 0x0
	s_load_dword s3, s[4:5], 0x10
	v_sub_u32_e32 v5, 0, v6
	v_max_i32_e32 v5, v6, v5
	s_load_dwordx2 s[18:19], s[4:5], 0x30
	s_waitcnt lgkmcnt(0)
	s_cmp_eq_u32 s10, 1
	s_cselect_b64 s[6:7], -1, 0
	s_cmpk_eq_i32 s8, 0x6f
	s_cselect_b64 s[16:17], -1, 0
	s_cmpk_lg_i32 s8, 0x6f
	s_cselect_b64 s[20:21], -1, 0
	s_abs_i32 s3, s3
	v_cvt_f32_u32_e32 v1, s3
	s_sub_i32 s8, 0, s3
	s_cmp_lg_u32 s10, 1
	v_rcp_iflag_f32_e32 v1, v1
	v_mul_f32_e32 v1, 0x4f7ffffe, v1
	v_cvt_u32_f32_e32 v1, v1
	v_mul_lo_u32 v6, s8, v1
	v_mul_hi_u32 v6, v1, v6
	v_add_u32_e32 v1, v1, v6
	v_mul_hi_u32 v1, v5, v1
	v_mul_lo_u32 v1, v1, s3
	v_sub_u32_e32 v1, v5, v1
	v_subrev_u32_e32 v5, s3, v1
	v_cmp_le_u32_e32 vcc, s3, v1
	v_cndmask_b32_e32 v1, v1, v5, vcc
	v_subrev_u32_e32 v5, s3, v1
	v_cmp_le_u32_e32 vcc, s3, v1
	v_cndmask_b32_e32 v1, v1, v5, vcc
	v_xor_b32_e32 v1, v1, v7
	v_sub_u32_e32 v8, v1, v7
	v_ashrrev_i32_e32 v9, 31, v8
	s_cbranch_scc0 .LBB10_11
; %bb.8:
	s_andn2_b64 vcc, exec, s[16:17]
	v_pk_mov_b32 v[6:7], v[8:9], v[8:9] op_sel:[0,1]
	s_cbranch_vccnz .LBB10_10
; %bb.9:
	v_mul_lo_u32 v1, v9, s18
	v_mul_lo_u32 v5, v8, s19
	v_mad_u64_u32 v[6:7], s[22:23], v8, s18, 0
	v_add3_u32 v7, v7, v5, v1
.LBB10_10:
	s_cbranch_execz .LBB10_12
	s_branch .LBB10_15
.LBB10_11:
                                        ; implicit-def: $vgpr6_vgpr7
.LBB10_12:
	s_andn2_b64 vcc, exec, s[20:21]
	s_cbranch_vccnz .LBB10_14
; %bb.13:
	v_mul_lo_u32 v1, v9, s18
	v_mul_lo_u32 v5, v8, s19
	v_mad_u64_u32 v[8:9], s[20:21], v8, s18, 0
	v_add3_u32 v9, v9, v5, v1
.LBB10_14:
	v_pk_mov_b32 v[6:7], v[8:9], v[8:9] op_sel:[0,1]
.LBB10_15:
	s_cmp_eq_u32 s11, 1
	s_cselect_b64 s[20:21], -1, 0
	s_cmpk_eq_i32 s9, 0x6f
	s_cselect_b64 s[22:23], -1, 0
	s_cmpk_lg_i32 s9, 0x6f
	s_cselect_b64 s[8:9], -1, 0
	s_cmp_lg_u32 s11, 1
	v_mov_b32_e32 v5, 0
	s_cbranch_scc0 .LBB10_19
; %bb.16:
	s_andn2_b64 vcc, exec, s[8:9]
	v_pk_mov_b32 v[8:9], v[4:5], v[4:5] op_sel:[0,1]
	s_cbranch_vccnz .LBB10_18
; %bb.17:
	v_mad_u64_u32 v[8:9], s[8:9], v4, s0, 0
	v_mov_b32_e32 v12, v9
	v_mad_u64_u32 v[12:13], s[8:9], v4, s1, v[12:13]
	v_mov_b32_e32 v9, v12
.LBB10_18:
	s_cbranch_execz .LBB10_20
	s_branch .LBB10_23
.LBB10_19:
                                        ; implicit-def: $vgpr8_vgpr9
.LBB10_20:
	s_andn2_b64 vcc, exec, s[22:23]
	s_cbranch_vccnz .LBB10_22
; %bb.21:
	v_mad_u64_u32 v[8:9], s[8:9], v4, s0, 0
	v_mov_b32_e32 v12, v9
	v_mad_u64_u32 v[4:5], s[8:9], v4, s1, v[12:13]
	v_mov_b32_e32 v9, v4
	v_pk_mov_b32 v[4:5], v[8:9], v[8:9] op_sel:[0,1]
.LBB10_22:
	v_pk_mov_b32 v[8:9], v[4:5], v[4:5] op_sel:[0,1]
.LBB10_23:
	s_load_dwordx2 s[8:9], s[4:5], 0x50
	v_and_b32_e32 v11, 1, v0
	v_cmp_gt_i32_e32 vcc, s14, v11
	v_mov_b32_e32 v12, 0
	s_and_saveexec_b64 s[10:11], vcc
	s_cbranch_execz .LBB10_27
; %bb.24:
	s_load_dwordx2 s[24:25], s[4:5], 0x28
	s_load_dwordx2 s[26:27], s[4:5], 0x38
	s_xor_b64 s[4:5], s[16:17], s[6:7]
	s_and_b64 s[4:5], s[4:5], exec
	s_cselect_b32 s5, 0, s19
	s_cselect_b32 s4, 1, s18
	v_and_b32_e32 v12, 1, v0
	v_mul_lo_u32 v1, s5, v12
	v_mul_lo_u32 v0, s4, v12
	v_lshlrev_b64 v[0:1], 2, v[0:1]
	v_lshlrev_b64 v[4:5], 2, v[6:7]
	s_xor_b64 s[6:7], s[22:23], s[20:21]
	v_add_co_u32_e32 v0, vcc, v0, v4
	s_and_b64 s[6:7], s[6:7], exec
	v_addc_co_u32_e32 v1, vcc, v1, v5, vcc
	s_cselect_b32 s7, s1, 0
	s_cselect_b32 s6, s0, 1
	s_waitcnt lgkmcnt(0)
	v_mov_b32_e32 v4, s25
	v_add_co_u32_e32 v0, vcc, s24, v0
	v_addc_co_u32_e32 v1, vcc, v4, v1, vcc
	v_mul_lo_u32 v5, s7, v12
	v_mul_lo_u32 v4, s6, v12
	v_lshlrev_b64 v[4:5], 2, v[4:5]
	v_lshlrev_b64 v[6:7], 2, v[8:9]
	v_add_co_u32_e32 v4, vcc, v4, v6
	v_addc_co_u32_e32 v5, vcc, v5, v7, vcc
	s_lshl_b64 s[0:1], s[4:5], 3
	v_mov_b32_e32 v6, s27
	v_add_co_u32_e32 v4, vcc, s26, v4
	s_lshl_b64 s[6:7], s[6:7], 3
	v_addc_co_u32_e32 v5, vcc, v6, v5, vcc
	s_mov_b64 s[4:5], 0
	v_mov_b32_e32 v12, 0
	v_mov_b32_e32 v6, s1
	;; [unrolled: 1-line block ×4, first 2 shown]
.LBB10_25:                              ; =>This Inner Loop Header: Depth=1
	global_load_dword v9, v[0:1], off
	global_load_dword v13, v[4:5], off
	v_add_co_u32_e32 v0, vcc, s0, v0
	v_addc_co_u32_e32 v1, vcc, v1, v6, vcc
	v_add_co_u32_e32 v4, vcc, s6, v4
	v_add_u32_e32 v8, 2, v8
	v_addc_co_u32_e32 v5, vcc, v5, v7, vcc
	v_cmp_le_i32_e32 vcc, s14, v8
	s_or_b64 s[4:5], vcc, s[4:5]
	s_waitcnt vmcnt(0)
	v_fmac_f32_e32 v12, v9, v13
	s_andn2_b64 exec, exec, s[4:5]
	s_cbranch_execnz .LBB10_25
; %bb.26:
	s_or_b64 exec, exec, s[4:5]
.LBB10_27:
	s_or_b64 exec, exec, s[10:11]
	v_lshlrev_b32_e32 v0, 3, v10
	v_lshl_or_b32 v1, v11, 2, v0
	v_cmp_eq_u32_e32 vcc, 0, v11
	ds_write_b32 v1, v12
	s_waitcnt lgkmcnt(0)
	s_barrier
	s_and_saveexec_b64 s[0:1], vcc
	s_cbranch_execz .LBB10_29
; %bb.28:
	ds_read_b32 v4, v0 offset:4
	ds_read_b32 v5, v1
	s_waitcnt lgkmcnt(0)
	v_add_f32_e32 v4, v4, v5
	ds_write_b32 v1, v4
.LBB10_29:
	s_or_b64 exec, exec, s[0:1]
	s_waitcnt lgkmcnt(0)
	s_barrier
	s_and_b64 exec, exec, vcc
	s_cbranch_execz .LBB10_31
; %bb.30:
	v_mov_b32_e32 v1, s9
	v_add_co_u32_e32 v2, vcc, s8, v2
	v_addc_co_u32_e32 v3, vcc, v1, v3, vcc
	global_load_dword v1, v[2:3], off
	ds_read_b32 v0, v0
	s_waitcnt lgkmcnt(0)
	v_mul_f32_e32 v0, s12, v0
	s_waitcnt vmcnt(0)
	v_fmac_f32_e32 v0, s2, v1
	global_store_dword v[2:3], v0, off
.LBB10_31:
	s_endpgm
	.section	.rodata,"a",@progbits
	.p2align	6, 0x0
	.amdhsa_kernel _ZN9rocsparseL16sddmm_ell_kernelILi512ELi2EfiifffEEv20rocsparse_operation_S1_16rocsparse_order_S2_T3_S3_S3_T2_NS_24const_host_device_scalarIT1_EEPKT4_lPKT5_lS7_PT6_PKS3_21rocsparse_index_base_b
		.amdhsa_group_segment_fixed_size 2048
		.amdhsa_private_segment_fixed_size 0
		.amdhsa_kernarg_size 104
		.amdhsa_user_sgpr_count 6
		.amdhsa_user_sgpr_private_segment_buffer 1
		.amdhsa_user_sgpr_dispatch_ptr 0
		.amdhsa_user_sgpr_queue_ptr 0
		.amdhsa_user_sgpr_kernarg_segment_ptr 1
		.amdhsa_user_sgpr_dispatch_id 0
		.amdhsa_user_sgpr_flat_scratch_init 0
		.amdhsa_user_sgpr_kernarg_preload_length 0
		.amdhsa_user_sgpr_kernarg_preload_offset 0
		.amdhsa_user_sgpr_private_segment_size 0
		.amdhsa_uses_dynamic_stack 0
		.amdhsa_system_sgpr_private_segment_wavefront_offset 0
		.amdhsa_system_sgpr_workgroup_id_x 1
		.amdhsa_system_sgpr_workgroup_id_y 0
		.amdhsa_system_sgpr_workgroup_id_z 0
		.amdhsa_system_sgpr_workgroup_info 0
		.amdhsa_system_vgpr_workitem_id 0
		.amdhsa_next_free_vgpr 14
		.amdhsa_next_free_sgpr 28
		.amdhsa_accum_offset 16
		.amdhsa_reserve_vcc 1
		.amdhsa_reserve_flat_scratch 0
		.amdhsa_float_round_mode_32 0
		.amdhsa_float_round_mode_16_64 0
		.amdhsa_float_denorm_mode_32 3
		.amdhsa_float_denorm_mode_16_64 3
		.amdhsa_dx10_clamp 1
		.amdhsa_ieee_mode 1
		.amdhsa_fp16_overflow 0
		.amdhsa_tg_split 0
		.amdhsa_exception_fp_ieee_invalid_op 0
		.amdhsa_exception_fp_denorm_src 0
		.amdhsa_exception_fp_ieee_div_zero 0
		.amdhsa_exception_fp_ieee_overflow 0
		.amdhsa_exception_fp_ieee_underflow 0
		.amdhsa_exception_fp_ieee_inexact 0
		.amdhsa_exception_int_div_zero 0
	.end_amdhsa_kernel
	.section	.text._ZN9rocsparseL16sddmm_ell_kernelILi512ELi2EfiifffEEv20rocsparse_operation_S1_16rocsparse_order_S2_T3_S3_S3_T2_NS_24const_host_device_scalarIT1_EEPKT4_lPKT5_lS7_PT6_PKS3_21rocsparse_index_base_b,"axG",@progbits,_ZN9rocsparseL16sddmm_ell_kernelILi512ELi2EfiifffEEv20rocsparse_operation_S1_16rocsparse_order_S2_T3_S3_S3_T2_NS_24const_host_device_scalarIT1_EEPKT4_lPKT5_lS7_PT6_PKS3_21rocsparse_index_base_b,comdat
.Lfunc_end10:
	.size	_ZN9rocsparseL16sddmm_ell_kernelILi512ELi2EfiifffEEv20rocsparse_operation_S1_16rocsparse_order_S2_T3_S3_S3_T2_NS_24const_host_device_scalarIT1_EEPKT4_lPKT5_lS7_PT6_PKS3_21rocsparse_index_base_b, .Lfunc_end10-_ZN9rocsparseL16sddmm_ell_kernelILi512ELi2EfiifffEEv20rocsparse_operation_S1_16rocsparse_order_S2_T3_S3_S3_T2_NS_24const_host_device_scalarIT1_EEPKT4_lPKT5_lS7_PT6_PKS3_21rocsparse_index_base_b
                                        ; -- End function
	.section	.AMDGPU.csdata,"",@progbits
; Kernel info:
; codeLenInByte = 1044
; NumSgprs: 32
; NumVgprs: 14
; NumAgprs: 0
; TotalNumVgprs: 14
; ScratchSize: 0
; MemoryBound: 0
; FloatMode: 240
; IeeeMode: 1
; LDSByteSize: 2048 bytes/workgroup (compile time only)
; SGPRBlocks: 3
; VGPRBlocks: 1
; NumSGPRsForWavesPerEU: 32
; NumVGPRsForWavesPerEU: 14
; AccumOffset: 16
; Occupancy: 8
; WaveLimiterHint : 0
; COMPUTE_PGM_RSRC2:SCRATCH_EN: 0
; COMPUTE_PGM_RSRC2:USER_SGPR: 6
; COMPUTE_PGM_RSRC2:TRAP_HANDLER: 0
; COMPUTE_PGM_RSRC2:TGID_X_EN: 1
; COMPUTE_PGM_RSRC2:TGID_Y_EN: 0
; COMPUTE_PGM_RSRC2:TGID_Z_EN: 0
; COMPUTE_PGM_RSRC2:TIDIG_COMP_CNT: 0
; COMPUTE_PGM_RSRC3_GFX90A:ACCUM_OFFSET: 3
; COMPUTE_PGM_RSRC3_GFX90A:TG_SPLIT: 0
	.section	.text._ZN9rocsparseL16sddmm_ell_kernelILi512ELi1EfiifffEEv20rocsparse_operation_S1_16rocsparse_order_S2_T3_S3_S3_T2_NS_24const_host_device_scalarIT1_EEPKT4_lPKT5_lS7_PT6_PKS3_21rocsparse_index_base_b,"axG",@progbits,_ZN9rocsparseL16sddmm_ell_kernelILi512ELi1EfiifffEEv20rocsparse_operation_S1_16rocsparse_order_S2_T3_S3_S3_T2_NS_24const_host_device_scalarIT1_EEPKT4_lPKT5_lS7_PT6_PKS3_21rocsparse_index_base_b,comdat
	.globl	_ZN9rocsparseL16sddmm_ell_kernelILi512ELi1EfiifffEEv20rocsparse_operation_S1_16rocsparse_order_S2_T3_S3_S3_T2_NS_24const_host_device_scalarIT1_EEPKT4_lPKT5_lS7_PT6_PKS3_21rocsparse_index_base_b ; -- Begin function _ZN9rocsparseL16sddmm_ell_kernelILi512ELi1EfiifffEEv20rocsparse_operation_S1_16rocsparse_order_S2_T3_S3_S3_T2_NS_24const_host_device_scalarIT1_EEPKT4_lPKT5_lS7_PT6_PKS3_21rocsparse_index_base_b
	.p2align	8
	.type	_ZN9rocsparseL16sddmm_ell_kernelILi512ELi1EfiifffEEv20rocsparse_operation_S1_16rocsparse_order_S2_T3_S3_S3_T2_NS_24const_host_device_scalarIT1_EEPKT4_lPKT5_lS7_PT6_PKS3_21rocsparse_index_base_b,@function
_ZN9rocsparseL16sddmm_ell_kernelILi512ELi1EfiifffEEv20rocsparse_operation_S1_16rocsparse_order_S2_T3_S3_S3_T2_NS_24const_host_device_scalarIT1_EEPKT4_lPKT5_lS7_PT6_PKS3_21rocsparse_index_base_b: ; @_ZN9rocsparseL16sddmm_ell_kernelILi512ELi1EfiifffEEv20rocsparse_operation_S1_16rocsparse_order_S2_T3_S3_S3_T2_NS_24const_host_device_scalarIT1_EEPKT4_lPKT5_lS7_PT6_PKS3_21rocsparse_index_base_b
; %bb.0:
	s_load_dwordx2 s[8:9], s[4:5], 0x60
	s_load_dwordx2 s[12:13], s[4:5], 0x20
	s_load_dwordx4 s[0:3], s[4:5], 0x40
	s_waitcnt lgkmcnt(0)
	s_bitcmp1_b32 s9, 0
	s_cselect_b64 s[14:15], -1, 0
	s_xor_b64 s[10:11], s[14:15], -1
	s_and_b64 vcc, exec, s[14:15]
	s_cbranch_vccnz .LBB11_2
; %bb.1:
	s_load_dword s12, s[12:13], 0x0
.LBB11_2:
	s_andn2_b64 vcc, exec, s[10:11]
	s_cbranch_vccnz .LBB11_4
; %bb.3:
	s_load_dword s2, s[2:3], 0x0
.LBB11_4:
	s_waitcnt lgkmcnt(0)
	v_cmp_eq_f32_e64 s[10:11], s12, 0
	v_cmp_eq_f32_e64 s[14:15], s2, 1.0
	s_and_b64 s[10:11], s[10:11], s[14:15]
	s_and_b64 vcc, exec, s[10:11]
	s_cbranch_vccnz .LBB11_28
; %bb.5:
	s_load_dwordx2 s[14:15], s[4:5], 0x18
	v_lshl_or_b32 v6, s6, 9, v0
	s_waitcnt lgkmcnt(0)
	v_cmp_gt_i32_e32 vcc, s15, v6
	s_and_saveexec_b64 s[6:7], vcc
	s_cbranch_execz .LBB11_28
; %bb.6:
	s_load_dwordx2 s[6:7], s[4:5], 0x58
	v_ashrrev_i32_e32 v7, 31, v6
	v_lshlrev_b64 v[2:3], 2, v[6:7]
	s_waitcnt lgkmcnt(0)
	v_mov_b32_e32 v1, s7
	v_add_co_u32_e32 v4, vcc, s6, v2
	v_addc_co_u32_e32 v5, vcc, v1, v3, vcc
	global_load_dword v1, v[4:5], off
	s_waitcnt vmcnt(0)
	v_subrev_u32_e32 v4, s8, v1
	v_cmp_lt_i32_e32 vcc, -1, v4
	s_and_b64 exec, exec, vcc
	s_cbranch_execz .LBB11_28
; %bb.7:
	s_load_dwordx4 s[8:11], s[4:5], 0x0
	s_load_dword s3, s[4:5], 0x10
	v_sub_u32_e32 v5, 0, v6
	v_max_i32_e32 v5, v6, v5
	s_load_dwordx2 s[18:19], s[4:5], 0x30
	s_waitcnt lgkmcnt(0)
	s_cmp_eq_u32 s10, 1
	s_cselect_b64 s[6:7], -1, 0
	s_cmpk_eq_i32 s8, 0x6f
	s_cselect_b64 s[16:17], -1, 0
	s_cmpk_lg_i32 s8, 0x6f
	s_cselect_b64 s[20:21], -1, 0
	s_abs_i32 s3, s3
	v_cvt_f32_u32_e32 v1, s3
	s_sub_i32 s8, 0, s3
	s_cmp_lg_u32 s10, 1
	v_rcp_iflag_f32_e32 v1, v1
	v_mul_f32_e32 v1, 0x4f7ffffe, v1
	v_cvt_u32_f32_e32 v1, v1
	v_mul_lo_u32 v6, s8, v1
	v_mul_hi_u32 v6, v1, v6
	v_add_u32_e32 v1, v1, v6
	v_mul_hi_u32 v1, v5, v1
	v_mul_lo_u32 v1, v1, s3
	v_sub_u32_e32 v1, v5, v1
	v_subrev_u32_e32 v5, s3, v1
	v_cmp_le_u32_e32 vcc, s3, v1
	v_cndmask_b32_e32 v1, v1, v5, vcc
	v_subrev_u32_e32 v5, s3, v1
	v_cmp_le_u32_e32 vcc, s3, v1
	v_cndmask_b32_e32 v1, v1, v5, vcc
	v_xor_b32_e32 v1, v1, v7
	v_sub_u32_e32 v8, v1, v7
	v_ashrrev_i32_e32 v9, 31, v8
	s_cbranch_scc0 .LBB11_11
; %bb.8:
	s_andn2_b64 vcc, exec, s[16:17]
	v_pk_mov_b32 v[6:7], v[8:9], v[8:9] op_sel:[0,1]
	s_cbranch_vccnz .LBB11_10
; %bb.9:
	v_mul_lo_u32 v1, v9, s18
	v_mul_lo_u32 v5, v8, s19
	v_mad_u64_u32 v[6:7], s[22:23], v8, s18, 0
	v_add3_u32 v7, v7, v5, v1
.LBB11_10:
	s_cbranch_execz .LBB11_12
	s_branch .LBB11_15
.LBB11_11:
                                        ; implicit-def: $vgpr6_vgpr7
.LBB11_12:
	s_andn2_b64 vcc, exec, s[20:21]
	s_cbranch_vccnz .LBB11_14
; %bb.13:
	v_mul_lo_u32 v1, v9, s18
	v_mul_lo_u32 v5, v8, s19
	v_mad_u64_u32 v[8:9], s[20:21], v8, s18, 0
	v_add3_u32 v9, v9, v5, v1
.LBB11_14:
	v_pk_mov_b32 v[6:7], v[8:9], v[8:9] op_sel:[0,1]
.LBB11_15:
	s_cmp_eq_u32 s11, 1
	s_cselect_b64 s[20:21], -1, 0
	s_cmpk_eq_i32 s9, 0x6f
	s_cselect_b64 s[22:23], -1, 0
	s_cmpk_lg_i32 s9, 0x6f
	s_cselect_b64 s[8:9], -1, 0
	s_cmp_lg_u32 s11, 1
	v_mov_b32_e32 v5, 0
	s_cbranch_scc0 .LBB11_19
; %bb.16:
	s_andn2_b64 vcc, exec, s[8:9]
	v_pk_mov_b32 v[8:9], v[4:5], v[4:5] op_sel:[0,1]
	s_cbranch_vccnz .LBB11_18
; %bb.17:
	v_mad_u64_u32 v[8:9], s[8:9], v4, s0, 0
	v_mov_b32_e32 v10, v9
	v_mad_u64_u32 v[10:11], s[8:9], v4, s1, v[10:11]
	v_mov_b32_e32 v9, v10
.LBB11_18:
	s_cbranch_execz .LBB11_20
	s_branch .LBB11_23
.LBB11_19:
                                        ; implicit-def: $vgpr8_vgpr9
.LBB11_20:
	s_andn2_b64 vcc, exec, s[22:23]
	s_cbranch_vccnz .LBB11_22
; %bb.21:
	v_mad_u64_u32 v[8:9], s[8:9], v4, s0, 0
	v_mov_b32_e32 v10, v9
	v_mad_u64_u32 v[4:5], s[8:9], v4, s1, v[10:11]
	v_mov_b32_e32 v9, v4
	v_pk_mov_b32 v[4:5], v[8:9], v[8:9] op_sel:[0,1]
.LBB11_22:
	v_pk_mov_b32 v[8:9], v[4:5], v[4:5] op_sel:[0,1]
.LBB11_23:
	s_load_dwordx2 s[8:9], s[4:5], 0x50
	s_cmp_lt_i32 s14, 1
	s_cbranch_scc1 .LBB11_26
; %bb.24:
	s_load_dwordx2 s[10:11], s[4:5], 0x38
	s_load_dwordx2 s[24:25], s[4:5], 0x28
	s_xor_b64 s[4:5], s[16:17], s[6:7]
	s_and_b64 s[4:5], s[4:5], exec
	v_lshlrev_b64 v[4:5], 2, v[8:9]
	s_cselect_b32 s5, 0, s19
	s_cselect_b32 s4, 1, s18
	s_xor_b64 s[6:7], s[22:23], s[20:21]
	s_waitcnt lgkmcnt(0)
	v_mov_b32_e32 v1, s11
	v_add_co_u32_e32 v4, vcc, s10, v4
	s_and_b64 s[6:7], s[6:7], exec
	v_addc_co_u32_e32 v5, vcc, v1, v5, vcc
	v_lshlrev_b64 v[6:7], 2, v[6:7]
	s_cselect_b32 s7, s1, 0
	s_cselect_b32 s6, s0, 1
	v_mov_b32_e32 v1, s25
	v_add_co_u32_e32 v6, vcc, s24, v6
	s_lshl_b64 s[0:1], s[4:5], 2
	s_lshl_b64 s[4:5], s[6:7], 2
	v_addc_co_u32_e32 v7, vcc, v1, v7, vcc
	v_mov_b32_e32 v1, 0
	v_mov_b32_e32 v8, s1
	;; [unrolled: 1-line block ×3, first 2 shown]
.LBB11_25:                              ; =>This Inner Loop Header: Depth=1
	global_load_dword v10, v[6:7], off
	global_load_dword v11, v[4:5], off
	v_add_co_u32_e32 v6, vcc, s0, v6
	v_addc_co_u32_e32 v7, vcc, v7, v8, vcc
	s_add_i32 s14, s14, -1
	v_add_co_u32_e32 v4, vcc, s4, v4
	v_addc_co_u32_e32 v5, vcc, v5, v9, vcc
	s_cmp_eq_u32 s14, 0
	s_waitcnt vmcnt(0)
	v_fmac_f32_e32 v1, v10, v11
	s_cbranch_scc0 .LBB11_25
	s_branch .LBB11_27
.LBB11_26:
	v_mov_b32_e32 v1, 0
.LBB11_27:
	v_lshlrev_b32_e32 v4, 2, v0
	ds_write_b32 v4, v1
	s_waitcnt lgkmcnt(0)
	v_mov_b32_e32 v1, s9
	v_add_co_u32_e32 v0, vcc, s8, v2
	v_addc_co_u32_e32 v1, vcc, v1, v3, vcc
	s_barrier
	global_load_dword v2, v[0:1], off
	ds_read_b32 v3, v4
	s_waitcnt lgkmcnt(0)
	v_mul_f32_e32 v3, s12, v3
	s_waitcnt vmcnt(0)
	v_fmac_f32_e32 v3, s2, v2
	global_store_dword v[0:1], v3, off
.LBB11_28:
	s_endpgm
	.section	.rodata,"a",@progbits
	.p2align	6, 0x0
	.amdhsa_kernel _ZN9rocsparseL16sddmm_ell_kernelILi512ELi1EfiifffEEv20rocsparse_operation_S1_16rocsparse_order_S2_T3_S3_S3_T2_NS_24const_host_device_scalarIT1_EEPKT4_lPKT5_lS7_PT6_PKS3_21rocsparse_index_base_b
		.amdhsa_group_segment_fixed_size 2048
		.amdhsa_private_segment_fixed_size 0
		.amdhsa_kernarg_size 104
		.amdhsa_user_sgpr_count 6
		.amdhsa_user_sgpr_private_segment_buffer 1
		.amdhsa_user_sgpr_dispatch_ptr 0
		.amdhsa_user_sgpr_queue_ptr 0
		.amdhsa_user_sgpr_kernarg_segment_ptr 1
		.amdhsa_user_sgpr_dispatch_id 0
		.amdhsa_user_sgpr_flat_scratch_init 0
		.amdhsa_user_sgpr_kernarg_preload_length 0
		.amdhsa_user_sgpr_kernarg_preload_offset 0
		.amdhsa_user_sgpr_private_segment_size 0
		.amdhsa_uses_dynamic_stack 0
		.amdhsa_system_sgpr_private_segment_wavefront_offset 0
		.amdhsa_system_sgpr_workgroup_id_x 1
		.amdhsa_system_sgpr_workgroup_id_y 0
		.amdhsa_system_sgpr_workgroup_id_z 0
		.amdhsa_system_sgpr_workgroup_info 0
		.amdhsa_system_vgpr_workitem_id 0
		.amdhsa_next_free_vgpr 12
		.amdhsa_next_free_sgpr 26
		.amdhsa_accum_offset 12
		.amdhsa_reserve_vcc 1
		.amdhsa_reserve_flat_scratch 0
		.amdhsa_float_round_mode_32 0
		.amdhsa_float_round_mode_16_64 0
		.amdhsa_float_denorm_mode_32 3
		.amdhsa_float_denorm_mode_16_64 3
		.amdhsa_dx10_clamp 1
		.amdhsa_ieee_mode 1
		.amdhsa_fp16_overflow 0
		.amdhsa_tg_split 0
		.amdhsa_exception_fp_ieee_invalid_op 0
		.amdhsa_exception_fp_denorm_src 0
		.amdhsa_exception_fp_ieee_div_zero 0
		.amdhsa_exception_fp_ieee_overflow 0
		.amdhsa_exception_fp_ieee_underflow 0
		.amdhsa_exception_fp_ieee_inexact 0
		.amdhsa_exception_int_div_zero 0
	.end_amdhsa_kernel
	.section	.text._ZN9rocsparseL16sddmm_ell_kernelILi512ELi1EfiifffEEv20rocsparse_operation_S1_16rocsparse_order_S2_T3_S3_S3_T2_NS_24const_host_device_scalarIT1_EEPKT4_lPKT5_lS7_PT6_PKS3_21rocsparse_index_base_b,"axG",@progbits,_ZN9rocsparseL16sddmm_ell_kernelILi512ELi1EfiifffEEv20rocsparse_operation_S1_16rocsparse_order_S2_T3_S3_S3_T2_NS_24const_host_device_scalarIT1_EEPKT4_lPKT5_lS7_PT6_PKS3_21rocsparse_index_base_b,comdat
.Lfunc_end11:
	.size	_ZN9rocsparseL16sddmm_ell_kernelILi512ELi1EfiifffEEv20rocsparse_operation_S1_16rocsparse_order_S2_T3_S3_S3_T2_NS_24const_host_device_scalarIT1_EEPKT4_lPKT5_lS7_PT6_PKS3_21rocsparse_index_base_b, .Lfunc_end11-_ZN9rocsparseL16sddmm_ell_kernelILi512ELi1EfiifffEEv20rocsparse_operation_S1_16rocsparse_order_S2_T3_S3_S3_T2_NS_24const_host_device_scalarIT1_EEPKT4_lPKT5_lS7_PT6_PKS3_21rocsparse_index_base_b
                                        ; -- End function
	.section	.AMDGPU.csdata,"",@progbits
; Kernel info:
; codeLenInByte = 872
; NumSgprs: 30
; NumVgprs: 12
; NumAgprs: 0
; TotalNumVgprs: 12
; ScratchSize: 0
; MemoryBound: 0
; FloatMode: 240
; IeeeMode: 1
; LDSByteSize: 2048 bytes/workgroup (compile time only)
; SGPRBlocks: 3
; VGPRBlocks: 1
; NumSGPRsForWavesPerEU: 30
; NumVGPRsForWavesPerEU: 12
; AccumOffset: 12
; Occupancy: 8
; WaveLimiterHint : 0
; COMPUTE_PGM_RSRC2:SCRATCH_EN: 0
; COMPUTE_PGM_RSRC2:USER_SGPR: 6
; COMPUTE_PGM_RSRC2:TRAP_HANDLER: 0
; COMPUTE_PGM_RSRC2:TGID_X_EN: 1
; COMPUTE_PGM_RSRC2:TGID_Y_EN: 0
; COMPUTE_PGM_RSRC2:TGID_Z_EN: 0
; COMPUTE_PGM_RSRC2:TIDIG_COMP_CNT: 0
; COMPUTE_PGM_RSRC3_GFX90A:ACCUM_OFFSET: 2
; COMPUTE_PGM_RSRC3_GFX90A:TG_SPLIT: 0
	.section	.text._ZN9rocsparseL23sddmm_ell_sample_kernelILi16ELi32EdidEEvT2_S1_PKT3_lS1_PS2_PKS1_21rocsparse_index_base_,"axG",@progbits,_ZN9rocsparseL23sddmm_ell_sample_kernelILi16ELi32EdidEEvT2_S1_PKT3_lS1_PS2_PKS1_21rocsparse_index_base_,comdat
	.globl	_ZN9rocsparseL23sddmm_ell_sample_kernelILi16ELi32EdidEEvT2_S1_PKT3_lS1_PS2_PKS1_21rocsparse_index_base_ ; -- Begin function _ZN9rocsparseL23sddmm_ell_sample_kernelILi16ELi32EdidEEvT2_S1_PKT3_lS1_PS2_PKS1_21rocsparse_index_base_
	.p2align	8
	.type	_ZN9rocsparseL23sddmm_ell_sample_kernelILi16ELi32EdidEEvT2_S1_PKT3_lS1_PS2_PKS1_21rocsparse_index_base_,@function
_ZN9rocsparseL23sddmm_ell_sample_kernelILi16ELi32EdidEEvT2_S1_PKT3_lS1_PS2_PKS1_21rocsparse_index_base_: ; @_ZN9rocsparseL23sddmm_ell_sample_kernelILi16ELi32EdidEEvT2_S1_PKT3_lS1_PS2_PKS1_21rocsparse_index_base_
; %bb.0:
	s_load_dword s0, s[4:5], 0x18
	v_lshrrev_b32_e32 v1, 5, v0
	v_lshl_or_b32 v1, s6, 4, v1
	s_waitcnt lgkmcnt(0)
	v_cmp_gt_u32_e32 vcc, s0, v1
	s_and_saveexec_b64 s[0:1], vcc
	s_cbranch_execz .LBB12_6
; %bb.1:
	s_load_dwordx2 s[2:3], s[4:5], 0x0
	v_and_b32_e32 v4, 31, v0
	s_waitcnt lgkmcnt(0)
	v_cmp_gt_i32_e32 vcc, s2, v4
	s_and_b64 exec, exec, vcc
	s_cbranch_execz .LBB12_6
; %bb.2:
	s_load_dwordx4 s[16:19], s[4:5], 0x8
	s_load_dwordx4 s[8:11], s[4:5], 0x20
	s_load_dword s12, s[4:5], 0x30
	v_and_b32_e32 v0, 31, v0
	v_lshlrev_b32_e32 v0, 3, v0
	s_waitcnt lgkmcnt(0)
	v_mov_b32_e32 v3, s17
	v_add_co_u32_e32 v2, vcc, s16, v0
	v_mul_lo_u32 v5, v1, s2
	s_lshl_b64 s[4:5], s[18:19], 3
	v_mov_b32_e32 v1, 0
	v_addc_co_u32_e32 v3, vcc, 0, v3, vcc
	s_mov_b64 s[6:7], 0
	v_mov_b32_e32 v6, s11
	s_branch .LBB12_4
.LBB12_3:                               ;   in Loop: Header=BB12_4 Depth=1
	s_or_b64 exec, exec, s[0:1]
	v_add_u32_e32 v4, 32, v4
	v_add_co_u32_e32 v2, vcc, 0x100, v2
	v_cmp_le_i32_e64 s[0:1], s2, v4
	s_or_b64 s[6:7], s[0:1], s[6:7]
	v_addc_co_u32_e32 v3, vcc, 0, v3, vcc
	s_andn2_b64 exec, exec, s[6:7]
	s_cbranch_execz .LBB12_6
.LBB12_4:                               ; =>This Inner Loop Header: Depth=1
	v_add_u32_e32 v0, v5, v4
	v_lshlrev_b64 v[8:9], 2, v[0:1]
	v_add_co_u32_e32 v8, vcc, s10, v8
	v_addc_co_u32_e32 v9, vcc, v6, v9, vcc
	global_load_dword v7, v[8:9], off
	s_waitcnt vmcnt(0)
	v_subrev_u32_e32 v7, s12, v7
	v_cmp_lt_i32_e32 vcc, -1, v7
	v_cmp_gt_i32_e64 s[0:1], s3, v7
	s_and_b64 s[14:15], vcc, s[0:1]
	s_and_saveexec_b64 s[0:1], s[14:15]
	s_cbranch_execz .LBB12_3
; %bb.5:                                ;   in Loop: Header=BB12_4 Depth=1
	v_mad_u64_u32 v[8:9], s[14:15], s4, v7, v[2:3]
	v_mov_b32_e32 v10, v9
	v_mad_u64_u32 v[10:11], s[14:15], s5, v7, v[10:11]
	v_mov_b32_e32 v9, v10
	global_load_dwordx2 v[8:9], v[8:9], off
	v_lshlrev_b64 v[10:11], 3, v[0:1]
	v_mov_b32_e32 v0, s9
	v_add_co_u32_e32 v10, vcc, s8, v10
	v_addc_co_u32_e32 v11, vcc, v0, v11, vcc
	s_waitcnt vmcnt(0)
	global_store_dwordx2 v[10:11], v[8:9], off
	s_branch .LBB12_3
.LBB12_6:
	s_endpgm
	.section	.rodata,"a",@progbits
	.p2align	6, 0x0
	.amdhsa_kernel _ZN9rocsparseL23sddmm_ell_sample_kernelILi16ELi32EdidEEvT2_S1_PKT3_lS1_PS2_PKS1_21rocsparse_index_base_
		.amdhsa_group_segment_fixed_size 0
		.amdhsa_private_segment_fixed_size 0
		.amdhsa_kernarg_size 52
		.amdhsa_user_sgpr_count 6
		.amdhsa_user_sgpr_private_segment_buffer 1
		.amdhsa_user_sgpr_dispatch_ptr 0
		.amdhsa_user_sgpr_queue_ptr 0
		.amdhsa_user_sgpr_kernarg_segment_ptr 1
		.amdhsa_user_sgpr_dispatch_id 0
		.amdhsa_user_sgpr_flat_scratch_init 0
		.amdhsa_user_sgpr_kernarg_preload_length 0
		.amdhsa_user_sgpr_kernarg_preload_offset 0
		.amdhsa_user_sgpr_private_segment_size 0
		.amdhsa_uses_dynamic_stack 0
		.amdhsa_system_sgpr_private_segment_wavefront_offset 0
		.amdhsa_system_sgpr_workgroup_id_x 1
		.amdhsa_system_sgpr_workgroup_id_y 0
		.amdhsa_system_sgpr_workgroup_id_z 0
		.amdhsa_system_sgpr_workgroup_info 0
		.amdhsa_system_vgpr_workitem_id 0
		.amdhsa_next_free_vgpr 12
		.amdhsa_next_free_sgpr 20
		.amdhsa_accum_offset 12
		.amdhsa_reserve_vcc 1
		.amdhsa_reserve_flat_scratch 0
		.amdhsa_float_round_mode_32 0
		.amdhsa_float_round_mode_16_64 0
		.amdhsa_float_denorm_mode_32 3
		.amdhsa_float_denorm_mode_16_64 3
		.amdhsa_dx10_clamp 1
		.amdhsa_ieee_mode 1
		.amdhsa_fp16_overflow 0
		.amdhsa_tg_split 0
		.amdhsa_exception_fp_ieee_invalid_op 0
		.amdhsa_exception_fp_denorm_src 0
		.amdhsa_exception_fp_ieee_div_zero 0
		.amdhsa_exception_fp_ieee_overflow 0
		.amdhsa_exception_fp_ieee_underflow 0
		.amdhsa_exception_fp_ieee_inexact 0
		.amdhsa_exception_int_div_zero 0
	.end_amdhsa_kernel
	.section	.text._ZN9rocsparseL23sddmm_ell_sample_kernelILi16ELi32EdidEEvT2_S1_PKT3_lS1_PS2_PKS1_21rocsparse_index_base_,"axG",@progbits,_ZN9rocsparseL23sddmm_ell_sample_kernelILi16ELi32EdidEEvT2_S1_PKT3_lS1_PS2_PKS1_21rocsparse_index_base_,comdat
.Lfunc_end12:
	.size	_ZN9rocsparseL23sddmm_ell_sample_kernelILi16ELi32EdidEEvT2_S1_PKT3_lS1_PS2_PKS1_21rocsparse_index_base_, .Lfunc_end12-_ZN9rocsparseL23sddmm_ell_sample_kernelILi16ELi32EdidEEvT2_S1_PKT3_lS1_PS2_PKS1_21rocsparse_index_base_
                                        ; -- End function
	.section	.AMDGPU.csdata,"",@progbits
; Kernel info:
; codeLenInByte = 312
; NumSgprs: 24
; NumVgprs: 12
; NumAgprs: 0
; TotalNumVgprs: 12
; ScratchSize: 0
; MemoryBound: 0
; FloatMode: 240
; IeeeMode: 1
; LDSByteSize: 0 bytes/workgroup (compile time only)
; SGPRBlocks: 2
; VGPRBlocks: 1
; NumSGPRsForWavesPerEU: 24
; NumVGPRsForWavesPerEU: 12
; AccumOffset: 12
; Occupancy: 8
; WaveLimiterHint : 1
; COMPUTE_PGM_RSRC2:SCRATCH_EN: 0
; COMPUTE_PGM_RSRC2:USER_SGPR: 6
; COMPUTE_PGM_RSRC2:TRAP_HANDLER: 0
; COMPUTE_PGM_RSRC2:TGID_X_EN: 1
; COMPUTE_PGM_RSRC2:TGID_Y_EN: 0
; COMPUTE_PGM_RSRC2:TGID_Z_EN: 0
; COMPUTE_PGM_RSRC2:TIDIG_COMP_CNT: 0
; COMPUTE_PGM_RSRC3_GFX90A:ACCUM_OFFSET: 2
; COMPUTE_PGM_RSRC3_GFX90A:TG_SPLIT: 0
	.section	.text._ZN9rocsparseL23sddmm_ell_sample_kernelILi16ELi64EdidEEvT2_S1_PKT3_lS1_PS2_PKS1_21rocsparse_index_base_,"axG",@progbits,_ZN9rocsparseL23sddmm_ell_sample_kernelILi16ELi64EdidEEvT2_S1_PKT3_lS1_PS2_PKS1_21rocsparse_index_base_,comdat
	.globl	_ZN9rocsparseL23sddmm_ell_sample_kernelILi16ELi64EdidEEvT2_S1_PKT3_lS1_PS2_PKS1_21rocsparse_index_base_ ; -- Begin function _ZN9rocsparseL23sddmm_ell_sample_kernelILi16ELi64EdidEEvT2_S1_PKT3_lS1_PS2_PKS1_21rocsparse_index_base_
	.p2align	8
	.type	_ZN9rocsparseL23sddmm_ell_sample_kernelILi16ELi64EdidEEvT2_S1_PKT3_lS1_PS2_PKS1_21rocsparse_index_base_,@function
_ZN9rocsparseL23sddmm_ell_sample_kernelILi16ELi64EdidEEvT2_S1_PKT3_lS1_PS2_PKS1_21rocsparse_index_base_: ; @_ZN9rocsparseL23sddmm_ell_sample_kernelILi16ELi64EdidEEvT2_S1_PKT3_lS1_PS2_PKS1_21rocsparse_index_base_
; %bb.0:
	s_load_dword s0, s[4:5], 0x18
	v_lshrrev_b32_e32 v1, 6, v0
	v_lshl_or_b32 v1, s6, 4, v1
	s_waitcnt lgkmcnt(0)
	v_cmp_gt_u32_e32 vcc, s0, v1
	s_and_saveexec_b64 s[0:1], vcc
	s_cbranch_execz .LBB13_6
; %bb.1:
	s_load_dwordx2 s[2:3], s[4:5], 0x0
	v_and_b32_e32 v4, 63, v0
	s_waitcnt lgkmcnt(0)
	v_cmp_gt_i32_e32 vcc, s2, v4
	s_and_b64 exec, exec, vcc
	s_cbranch_execz .LBB13_6
; %bb.2:
	s_load_dwordx4 s[16:19], s[4:5], 0x8
	s_load_dwordx4 s[8:11], s[4:5], 0x20
	s_load_dword s12, s[4:5], 0x30
	v_and_b32_e32 v0, 63, v0
	v_lshlrev_b32_e32 v0, 3, v0
	s_waitcnt lgkmcnt(0)
	v_mov_b32_e32 v3, s17
	v_add_co_u32_e32 v2, vcc, s16, v0
	v_mul_lo_u32 v5, v1, s2
	s_lshl_b64 s[4:5], s[18:19], 3
	v_mov_b32_e32 v1, 0
	v_addc_co_u32_e32 v3, vcc, 0, v3, vcc
	s_mov_b64 s[6:7], 0
	v_mov_b32_e32 v6, s11
	s_branch .LBB13_4
.LBB13_3:                               ;   in Loop: Header=BB13_4 Depth=1
	s_or_b64 exec, exec, s[0:1]
	v_add_u32_e32 v4, 64, v4
	v_add_co_u32_e32 v2, vcc, 0x200, v2
	v_cmp_le_i32_e64 s[0:1], s2, v4
	s_or_b64 s[6:7], s[0:1], s[6:7]
	v_addc_co_u32_e32 v3, vcc, 0, v3, vcc
	s_andn2_b64 exec, exec, s[6:7]
	s_cbranch_execz .LBB13_6
.LBB13_4:                               ; =>This Inner Loop Header: Depth=1
	v_add_u32_e32 v0, v5, v4
	v_lshlrev_b64 v[8:9], 2, v[0:1]
	v_add_co_u32_e32 v8, vcc, s10, v8
	v_addc_co_u32_e32 v9, vcc, v6, v9, vcc
	global_load_dword v7, v[8:9], off
	s_waitcnt vmcnt(0)
	v_subrev_u32_e32 v7, s12, v7
	v_cmp_lt_i32_e32 vcc, -1, v7
	v_cmp_gt_i32_e64 s[0:1], s3, v7
	s_and_b64 s[14:15], vcc, s[0:1]
	s_and_saveexec_b64 s[0:1], s[14:15]
	s_cbranch_execz .LBB13_3
; %bb.5:                                ;   in Loop: Header=BB13_4 Depth=1
	v_mad_u64_u32 v[8:9], s[14:15], s4, v7, v[2:3]
	v_mov_b32_e32 v10, v9
	v_mad_u64_u32 v[10:11], s[14:15], s5, v7, v[10:11]
	v_mov_b32_e32 v9, v10
	global_load_dwordx2 v[8:9], v[8:9], off
	v_lshlrev_b64 v[10:11], 3, v[0:1]
	v_mov_b32_e32 v0, s9
	v_add_co_u32_e32 v10, vcc, s8, v10
	v_addc_co_u32_e32 v11, vcc, v0, v11, vcc
	s_waitcnt vmcnt(0)
	global_store_dwordx2 v[10:11], v[8:9], off
	s_branch .LBB13_3
.LBB13_6:
	s_endpgm
	.section	.rodata,"a",@progbits
	.p2align	6, 0x0
	.amdhsa_kernel _ZN9rocsparseL23sddmm_ell_sample_kernelILi16ELi64EdidEEvT2_S1_PKT3_lS1_PS2_PKS1_21rocsparse_index_base_
		.amdhsa_group_segment_fixed_size 0
		.amdhsa_private_segment_fixed_size 0
		.amdhsa_kernarg_size 52
		.amdhsa_user_sgpr_count 6
		.amdhsa_user_sgpr_private_segment_buffer 1
		.amdhsa_user_sgpr_dispatch_ptr 0
		.amdhsa_user_sgpr_queue_ptr 0
		.amdhsa_user_sgpr_kernarg_segment_ptr 1
		.amdhsa_user_sgpr_dispatch_id 0
		.amdhsa_user_sgpr_flat_scratch_init 0
		.amdhsa_user_sgpr_kernarg_preload_length 0
		.amdhsa_user_sgpr_kernarg_preload_offset 0
		.amdhsa_user_sgpr_private_segment_size 0
		.amdhsa_uses_dynamic_stack 0
		.amdhsa_system_sgpr_private_segment_wavefront_offset 0
		.amdhsa_system_sgpr_workgroup_id_x 1
		.amdhsa_system_sgpr_workgroup_id_y 0
		.amdhsa_system_sgpr_workgroup_id_z 0
		.amdhsa_system_sgpr_workgroup_info 0
		.amdhsa_system_vgpr_workitem_id 0
		.amdhsa_next_free_vgpr 12
		.amdhsa_next_free_sgpr 20
		.amdhsa_accum_offset 12
		.amdhsa_reserve_vcc 1
		.amdhsa_reserve_flat_scratch 0
		.amdhsa_float_round_mode_32 0
		.amdhsa_float_round_mode_16_64 0
		.amdhsa_float_denorm_mode_32 3
		.amdhsa_float_denorm_mode_16_64 3
		.amdhsa_dx10_clamp 1
		.amdhsa_ieee_mode 1
		.amdhsa_fp16_overflow 0
		.amdhsa_tg_split 0
		.amdhsa_exception_fp_ieee_invalid_op 0
		.amdhsa_exception_fp_denorm_src 0
		.amdhsa_exception_fp_ieee_div_zero 0
		.amdhsa_exception_fp_ieee_overflow 0
		.amdhsa_exception_fp_ieee_underflow 0
		.amdhsa_exception_fp_ieee_inexact 0
		.amdhsa_exception_int_div_zero 0
	.end_amdhsa_kernel
	.section	.text._ZN9rocsparseL23sddmm_ell_sample_kernelILi16ELi64EdidEEvT2_S1_PKT3_lS1_PS2_PKS1_21rocsparse_index_base_,"axG",@progbits,_ZN9rocsparseL23sddmm_ell_sample_kernelILi16ELi64EdidEEvT2_S1_PKT3_lS1_PS2_PKS1_21rocsparse_index_base_,comdat
.Lfunc_end13:
	.size	_ZN9rocsparseL23sddmm_ell_sample_kernelILi16ELi64EdidEEvT2_S1_PKT3_lS1_PS2_PKS1_21rocsparse_index_base_, .Lfunc_end13-_ZN9rocsparseL23sddmm_ell_sample_kernelILi16ELi64EdidEEvT2_S1_PKT3_lS1_PS2_PKS1_21rocsparse_index_base_
                                        ; -- End function
	.section	.AMDGPU.csdata,"",@progbits
; Kernel info:
; codeLenInByte = 312
; NumSgprs: 24
; NumVgprs: 12
; NumAgprs: 0
; TotalNumVgprs: 12
; ScratchSize: 0
; MemoryBound: 0
; FloatMode: 240
; IeeeMode: 1
; LDSByteSize: 0 bytes/workgroup (compile time only)
; SGPRBlocks: 2
; VGPRBlocks: 1
; NumSGPRsForWavesPerEU: 24
; NumVGPRsForWavesPerEU: 12
; AccumOffset: 12
; Occupancy: 8
; WaveLimiterHint : 1
; COMPUTE_PGM_RSRC2:SCRATCH_EN: 0
; COMPUTE_PGM_RSRC2:USER_SGPR: 6
; COMPUTE_PGM_RSRC2:TRAP_HANDLER: 0
; COMPUTE_PGM_RSRC2:TGID_X_EN: 1
; COMPUTE_PGM_RSRC2:TGID_Y_EN: 0
; COMPUTE_PGM_RSRC2:TGID_Z_EN: 0
; COMPUTE_PGM_RSRC2:TIDIG_COMP_CNT: 0
; COMPUTE_PGM_RSRC3_GFX90A:ACCUM_OFFSET: 2
; COMPUTE_PGM_RSRC3_GFX90A:TG_SPLIT: 0
	.section	.text._ZN9rocsparseL16sddmm_ell_kernelILi512ELi8EdiidddEEv20rocsparse_operation_S1_16rocsparse_order_S2_T3_S3_S3_T2_NS_24const_host_device_scalarIT1_EEPKT4_lPKT5_lS7_PT6_PKS3_21rocsparse_index_base_b,"axG",@progbits,_ZN9rocsparseL16sddmm_ell_kernelILi512ELi8EdiidddEEv20rocsparse_operation_S1_16rocsparse_order_S2_T3_S3_S3_T2_NS_24const_host_device_scalarIT1_EEPKT4_lPKT5_lS7_PT6_PKS3_21rocsparse_index_base_b,comdat
	.globl	_ZN9rocsparseL16sddmm_ell_kernelILi512ELi8EdiidddEEv20rocsparse_operation_S1_16rocsparse_order_S2_T3_S3_S3_T2_NS_24const_host_device_scalarIT1_EEPKT4_lPKT5_lS7_PT6_PKS3_21rocsparse_index_base_b ; -- Begin function _ZN9rocsparseL16sddmm_ell_kernelILi512ELi8EdiidddEEv20rocsparse_operation_S1_16rocsparse_order_S2_T3_S3_S3_T2_NS_24const_host_device_scalarIT1_EEPKT4_lPKT5_lS7_PT6_PKS3_21rocsparse_index_base_b
	.p2align	8
	.type	_ZN9rocsparseL16sddmm_ell_kernelILi512ELi8EdiidddEEv20rocsparse_operation_S1_16rocsparse_order_S2_T3_S3_S3_T2_NS_24const_host_device_scalarIT1_EEPKT4_lPKT5_lS7_PT6_PKS3_21rocsparse_index_base_b,@function
_ZN9rocsparseL16sddmm_ell_kernelILi512ELi8EdiidddEEv20rocsparse_operation_S1_16rocsparse_order_S2_T3_S3_S3_T2_NS_24const_host_device_scalarIT1_EEPKT4_lPKT5_lS7_PT6_PKS3_21rocsparse_index_base_b: ; @_ZN9rocsparseL16sddmm_ell_kernelILi512ELi8EdiidddEEv20rocsparse_operation_S1_16rocsparse_order_S2_T3_S3_S3_T2_NS_24const_host_device_scalarIT1_EEPKT4_lPKT5_lS7_PT6_PKS3_21rocsparse_index_base_b
; %bb.0:
	s_load_dwordx2 s[2:3], s[4:5], 0x60
	s_load_dwordx2 s[12:13], s[4:5], 0x20
	s_load_dwordx4 s[8:11], s[4:5], 0x40
	s_waitcnt lgkmcnt(0)
	s_bitcmp1_b32 s3, 0
	s_cselect_b64 s[14:15], -1, 0
	s_xor_b64 s[0:1], s[14:15], -1
	s_and_b64 vcc, exec, s[14:15]
	v_pk_mov_b32 v[2:3], s[12:13], s[12:13] op_sel:[0,1]
	s_cbranch_vccnz .LBB14_2
; %bb.1:
	v_pk_mov_b32 v[2:3], s[12:13], s[12:13] op_sel:[0,1]
	flat_load_dwordx2 v[2:3], v[2:3]
.LBB14_2:
	s_andn2_b64 vcc, exec, s[0:1]
	v_pk_mov_b32 v[4:5], s[10:11], s[10:11] op_sel:[0,1]
	s_cbranch_vccnz .LBB14_4
; %bb.3:
	v_pk_mov_b32 v[4:5], s[10:11], s[10:11] op_sel:[0,1]
	flat_load_dwordx2 v[4:5], v[4:5]
.LBB14_4:
	s_waitcnt vmcnt(0) lgkmcnt(0)
	v_cmp_neq_f64_e32 vcc, 0, v[2:3]
	v_cmp_neq_f64_e64 s[0:1], 1.0, v[4:5]
	s_or_b64 s[0:1], vcc, s[0:1]
	s_and_saveexec_b64 s[10:11], s[0:1]
	s_cbranch_execz .LBB14_35
; %bb.5:
	s_load_dwordx2 s[10:11], s[4:5], 0x18
	v_lshrrev_b32_e32 v14, 3, v0
	v_lshl_or_b32 v6, s6, 6, v14
	s_waitcnt lgkmcnt(0)
	v_cmp_gt_i32_e32 vcc, s11, v6
	s_and_b64 exec, exec, vcc
	s_cbranch_execz .LBB14_35
; %bb.6:
	s_load_dwordx2 s[0:1], s[4:5], 0x58
	v_ashrrev_i32_e32 v7, 31, v6
	v_lshlrev_b64 v[8:9], 2, v[6:7]
	s_waitcnt lgkmcnt(0)
	v_mov_b32_e32 v1, s1
	v_add_co_u32_e32 v8, vcc, s0, v8
	v_addc_co_u32_e32 v9, vcc, v1, v9, vcc
	global_load_dword v1, v[8:9], off
	s_waitcnt vmcnt(0)
	v_subrev_u32_e32 v8, s2, v1
	v_cmp_lt_i32_e32 vcc, -1, v8
	s_and_b64 exec, exec, vcc
	s_cbranch_execz .LBB14_35
; %bb.7:
	s_load_dwordx4 s[0:3], s[4:5], 0x0
	s_load_dword s11, s[4:5], 0x10
	v_sub_u32_e32 v9, 0, v6
	v_max_i32_e32 v9, v6, v9
	s_load_dwordx2 s[14:15], s[4:5], 0x30
	s_waitcnt lgkmcnt(0)
	s_cmp_eq_u32 s2, 1
	s_cselect_b64 s[6:7], -1, 0
	s_cmpk_eq_i32 s0, 0x6f
	s_cselect_b64 s[12:13], -1, 0
	s_cmpk_lg_i32 s0, 0x6f
	s_cselect_b64 s[16:17], -1, 0
	s_abs_i32 s0, s11
	v_cvt_f32_u32_e32 v1, s0
	s_sub_i32 s11, 0, s0
	s_cmp_lg_u32 s2, 1
	v_rcp_iflag_f32_e32 v1, v1
	v_mul_f32_e32 v1, 0x4f7ffffe, v1
	v_cvt_u32_f32_e32 v1, v1
	v_mul_lo_u32 v10, s11, v1
	v_mul_hi_u32 v10, v1, v10
	v_add_u32_e32 v1, v1, v10
	v_mul_hi_u32 v1, v9, v1
	v_mul_lo_u32 v1, v1, s0
	v_sub_u32_e32 v1, v9, v1
	v_subrev_u32_e32 v9, s0, v1
	v_cmp_le_u32_e32 vcc, s0, v1
	v_cndmask_b32_e32 v1, v1, v9, vcc
	v_subrev_u32_e32 v9, s0, v1
	v_cmp_le_u32_e32 vcc, s0, v1
	v_cndmask_b32_e32 v1, v1, v9, vcc
	v_xor_b32_e32 v1, v1, v7
	v_sub_u32_e32 v12, v1, v7
	v_ashrrev_i32_e32 v13, 31, v12
	s_cbranch_scc0 .LBB14_11
; %bb.8:
	s_andn2_b64 vcc, exec, s[12:13]
	v_pk_mov_b32 v[10:11], v[12:13], v[12:13] op_sel:[0,1]
	s_cbranch_vccnz .LBB14_10
; %bb.9:
	v_mul_lo_u32 v1, v13, s14
	v_mul_lo_u32 v9, v12, s15
	v_mad_u64_u32 v[10:11], s[18:19], v12, s14, 0
	v_add3_u32 v11, v11, v9, v1
.LBB14_10:
	s_cbranch_execz .LBB14_12
	s_branch .LBB14_15
.LBB14_11:
                                        ; implicit-def: $vgpr10_vgpr11
.LBB14_12:
	s_andn2_b64 vcc, exec, s[16:17]
	s_cbranch_vccnz .LBB14_14
; %bb.13:
	v_mul_lo_u32 v1, v13, s14
	v_mul_lo_u32 v9, v12, s15
	v_mad_u64_u32 v[12:13], s[16:17], v12, s14, 0
	v_add3_u32 v13, v13, v9, v1
.LBB14_14:
	v_pk_mov_b32 v[10:11], v[12:13], v[12:13] op_sel:[0,1]
.LBB14_15:
	s_cmp_eq_u32 s3, 1
	s_cselect_b64 s[16:17], -1, 0
	s_cmpk_eq_i32 s1, 0x6f
	s_cselect_b64 s[18:19], -1, 0
	s_cmpk_lg_i32 s1, 0x6f
	s_cselect_b64 s[0:1], -1, 0
	s_cmp_lg_u32 s3, 1
	v_mov_b32_e32 v9, 0
	s_cbranch_scc0 .LBB14_19
; %bb.16:
	s_andn2_b64 vcc, exec, s[0:1]
	v_pk_mov_b32 v[12:13], v[8:9], v[8:9] op_sel:[0,1]
	s_cbranch_vccnz .LBB14_18
; %bb.17:
	v_mad_u64_u32 v[12:13], s[0:1], v8, s8, 0
	v_mov_b32_e32 v16, v13
	v_mad_u64_u32 v[16:17], s[0:1], v8, s9, v[16:17]
	v_mov_b32_e32 v13, v16
.LBB14_18:
	s_cbranch_execz .LBB14_20
	s_branch .LBB14_23
.LBB14_19:
                                        ; implicit-def: $vgpr12_vgpr13
.LBB14_20:
	s_andn2_b64 vcc, exec, s[18:19]
	s_cbranch_vccnz .LBB14_22
; %bb.21:
	v_mad_u64_u32 v[12:13], s[0:1], v8, s8, 0
	v_mov_b32_e32 v16, v13
	v_mad_u64_u32 v[8:9], s[0:1], v8, s9, v[16:17]
	v_mov_b32_e32 v13, v8
	v_pk_mov_b32 v[8:9], v[12:13], v[12:13] op_sel:[0,1]
.LBB14_22:
	v_pk_mov_b32 v[12:13], v[8:9], v[8:9] op_sel:[0,1]
.LBB14_23:
	s_load_dwordx2 s[0:1], s[4:5], 0x50
	v_and_b32_e32 v15, 7, v0
	v_cmp_gt_i32_e32 vcc, s10, v15
	v_pk_mov_b32 v[8:9], 0, 0
	s_and_saveexec_b64 s[2:3], vcc
	s_cbranch_execz .LBB14_27
; %bb.24:
	s_load_dwordx2 s[20:21], s[4:5], 0x28
	s_load_dwordx2 s[22:23], s[4:5], 0x38
	s_xor_b64 s[4:5], s[12:13], s[6:7]
	s_and_b64 s[4:5], s[4:5], exec
	s_cselect_b32 s5, 0, s15
	s_cselect_b32 s4, 1, s14
	s_xor_b64 s[6:7], s[18:19], s[16:17]
	s_and_b64 s[6:7], s[6:7], exec
	v_and_b32_e32 v16, 7, v0
	s_cselect_b32 s7, s9, 0
	s_cselect_b32 s6, s8, 1
	v_mad_u64_u32 v[0:1], s[8:9], s4, v16, 0
	v_mov_b32_e32 v8, v1
	v_mad_u64_u32 v[8:9], s[8:9], s5, v16, v[8:9]
	v_mov_b32_e32 v1, v8
	v_lshlrev_b64 v[0:1], 3, v[0:1]
	v_lshlrev_b64 v[8:9], 3, v[10:11]
	v_add_co_u32_e32 v0, vcc, v0, v8
	v_addc_co_u32_e32 v1, vcc, v1, v9, vcc
	s_waitcnt lgkmcnt(0)
	v_mov_b32_e32 v8, s21
	v_add_co_u32_e32 v0, vcc, s20, v0
	v_addc_co_u32_e32 v1, vcc, v8, v1, vcc
	v_mad_u64_u32 v[8:9], s[8:9], s6, v16, 0
	v_mov_b32_e32 v10, v9
	v_mad_u64_u32 v[10:11], s[8:9], s7, v16, v[10:11]
	v_mov_b32_e32 v9, v10
	v_lshlrev_b64 v[8:9], 3, v[8:9]
	v_lshlrev_b64 v[10:11], 3, v[12:13]
	v_add_co_u32_e32 v8, vcc, v8, v10
	v_addc_co_u32_e32 v9, vcc, v9, v11, vcc
	s_lshl_b64 s[4:5], s[4:5], 6
	v_mov_b32_e32 v11, s23
	v_add_co_u32_e32 v10, vcc, s22, v8
	s_lshl_b64 s[8:9], s[6:7], 6
	v_addc_co_u32_e32 v11, vcc, v11, v9, vcc
	s_mov_b64 s[6:7], 0
	v_pk_mov_b32 v[8:9], 0, 0
	v_mov_b32_e32 v12, s5
	v_mov_b32_e32 v13, s9
	;; [unrolled: 1-line block ×3, first 2 shown]
.LBB14_25:                              ; =>This Inner Loop Header: Depth=1
	global_load_dwordx2 v[18:19], v[0:1], off
	global_load_dwordx2 v[20:21], v[10:11], off
	v_add_co_u32_e32 v0, vcc, s4, v0
	v_addc_co_u32_e32 v1, vcc, v1, v12, vcc
	v_add_co_u32_e32 v10, vcc, s8, v10
	v_add_u32_e32 v16, 8, v16
	v_addc_co_u32_e32 v11, vcc, v11, v13, vcc
	v_cmp_le_i32_e32 vcc, s10, v16
	s_or_b64 s[6:7], vcc, s[6:7]
	s_waitcnt vmcnt(0)
	v_fmac_f64_e32 v[8:9], v[18:19], v[20:21]
	s_andn2_b64 exec, exec, s[6:7]
	s_cbranch_execnz .LBB14_25
; %bb.26:
	s_or_b64 exec, exec, s[6:7]
.LBB14_27:
	s_or_b64 exec, exec, s[2:3]
	v_lshlrev_b32_e32 v0, 3, v15
	v_lshl_or_b32 v0, v14, 6, v0
	v_cmp_gt_u32_e32 vcc, 4, v15
	ds_write_b64 v0, v[8:9]
	s_waitcnt lgkmcnt(0)
	s_barrier
	s_and_saveexec_b64 s[2:3], vcc
	s_cbranch_execz .LBB14_29
; %bb.28:
	ds_read2_b64 v[8:11], v0 offset1:4
	s_waitcnt lgkmcnt(0)
	v_add_f64 v[8:9], v[10:11], v[8:9]
	ds_write_b64 v0, v[8:9]
.LBB14_29:
	s_or_b64 exec, exec, s[2:3]
	v_cmp_gt_u32_e32 vcc, 2, v15
	s_waitcnt lgkmcnt(0)
	s_barrier
	s_and_saveexec_b64 s[2:3], vcc
	s_cbranch_execz .LBB14_31
; %bb.30:
	ds_read2_b64 v[8:11], v0 offset1:2
	s_waitcnt lgkmcnt(0)
	v_add_f64 v[8:9], v[10:11], v[8:9]
	ds_write_b64 v0, v[8:9]
.LBB14_31:
	s_or_b64 exec, exec, s[2:3]
	v_cmp_eq_u32_e32 vcc, 0, v15
	v_lshlrev_b32_e32 v1, 6, v14
	s_waitcnt lgkmcnt(0)
	s_barrier
	s_and_saveexec_b64 s[2:3], vcc
	s_cbranch_execz .LBB14_33
; %bb.32:
	ds_read_b64 v[8:9], v1 offset:8
	ds_read_b64 v[10:11], v0
	s_waitcnt lgkmcnt(0)
	v_add_f64 v[8:9], v[8:9], v[10:11]
	ds_write_b64 v0, v[8:9]
.LBB14_33:
	s_or_b64 exec, exec, s[2:3]
	s_waitcnt lgkmcnt(0)
	s_barrier
	s_and_b64 exec, exec, vcc
	s_cbranch_execz .LBB14_35
; %bb.34:
	v_lshlrev_b64 v[6:7], 3, v[6:7]
	v_mov_b32_e32 v0, s1
	v_add_co_u32_e32 v6, vcc, s0, v6
	v_addc_co_u32_e32 v7, vcc, v0, v7, vcc
	global_load_dwordx2 v[8:9], v[6:7], off
	ds_read_b64 v[0:1], v1
	s_waitcnt lgkmcnt(0)
	v_mul_f64 v[0:1], v[2:3], v[0:1]
	s_waitcnt vmcnt(0)
	v_fmac_f64_e32 v[0:1], v[4:5], v[8:9]
	global_store_dwordx2 v[6:7], v[0:1], off
.LBB14_35:
	s_endpgm
	.section	.rodata,"a",@progbits
	.p2align	6, 0x0
	.amdhsa_kernel _ZN9rocsparseL16sddmm_ell_kernelILi512ELi8EdiidddEEv20rocsparse_operation_S1_16rocsparse_order_S2_T3_S3_S3_T2_NS_24const_host_device_scalarIT1_EEPKT4_lPKT5_lS7_PT6_PKS3_21rocsparse_index_base_b
		.amdhsa_group_segment_fixed_size 4096
		.amdhsa_private_segment_fixed_size 0
		.amdhsa_kernarg_size 104
		.amdhsa_user_sgpr_count 6
		.amdhsa_user_sgpr_private_segment_buffer 1
		.amdhsa_user_sgpr_dispatch_ptr 0
		.amdhsa_user_sgpr_queue_ptr 0
		.amdhsa_user_sgpr_kernarg_segment_ptr 1
		.amdhsa_user_sgpr_dispatch_id 0
		.amdhsa_user_sgpr_flat_scratch_init 0
		.amdhsa_user_sgpr_kernarg_preload_length 0
		.amdhsa_user_sgpr_kernarg_preload_offset 0
		.amdhsa_user_sgpr_private_segment_size 0
		.amdhsa_uses_dynamic_stack 0
		.amdhsa_system_sgpr_private_segment_wavefront_offset 0
		.amdhsa_system_sgpr_workgroup_id_x 1
		.amdhsa_system_sgpr_workgroup_id_y 0
		.amdhsa_system_sgpr_workgroup_id_z 0
		.amdhsa_system_sgpr_workgroup_info 0
		.amdhsa_system_vgpr_workitem_id 0
		.amdhsa_next_free_vgpr 22
		.amdhsa_next_free_sgpr 24
		.amdhsa_accum_offset 24
		.amdhsa_reserve_vcc 1
		.amdhsa_reserve_flat_scratch 0
		.amdhsa_float_round_mode_32 0
		.amdhsa_float_round_mode_16_64 0
		.amdhsa_float_denorm_mode_32 3
		.amdhsa_float_denorm_mode_16_64 3
		.amdhsa_dx10_clamp 1
		.amdhsa_ieee_mode 1
		.amdhsa_fp16_overflow 0
		.amdhsa_tg_split 0
		.amdhsa_exception_fp_ieee_invalid_op 0
		.amdhsa_exception_fp_denorm_src 0
		.amdhsa_exception_fp_ieee_div_zero 0
		.amdhsa_exception_fp_ieee_overflow 0
		.amdhsa_exception_fp_ieee_underflow 0
		.amdhsa_exception_fp_ieee_inexact 0
		.amdhsa_exception_int_div_zero 0
	.end_amdhsa_kernel
	.section	.text._ZN9rocsparseL16sddmm_ell_kernelILi512ELi8EdiidddEEv20rocsparse_operation_S1_16rocsparse_order_S2_T3_S3_S3_T2_NS_24const_host_device_scalarIT1_EEPKT4_lPKT5_lS7_PT6_PKS3_21rocsparse_index_base_b,"axG",@progbits,_ZN9rocsparseL16sddmm_ell_kernelILi512ELi8EdiidddEEv20rocsparse_operation_S1_16rocsparse_order_S2_T3_S3_S3_T2_NS_24const_host_device_scalarIT1_EEPKT4_lPKT5_lS7_PT6_PKS3_21rocsparse_index_base_b,comdat
.Lfunc_end14:
	.size	_ZN9rocsparseL16sddmm_ell_kernelILi512ELi8EdiidddEEv20rocsparse_operation_S1_16rocsparse_order_S2_T3_S3_S3_T2_NS_24const_host_device_scalarIT1_EEPKT4_lPKT5_lS7_PT6_PKS3_21rocsparse_index_base_b, .Lfunc_end14-_ZN9rocsparseL16sddmm_ell_kernelILi512ELi8EdiidddEEv20rocsparse_operation_S1_16rocsparse_order_S2_T3_S3_S3_T2_NS_24const_host_device_scalarIT1_EEPKT4_lPKT5_lS7_PT6_PKS3_21rocsparse_index_base_b
                                        ; -- End function
	.section	.AMDGPU.csdata,"",@progbits
; Kernel info:
; codeLenInByte = 1220
; NumSgprs: 28
; NumVgprs: 22
; NumAgprs: 0
; TotalNumVgprs: 22
; ScratchSize: 0
; MemoryBound: 0
; FloatMode: 240
; IeeeMode: 1
; LDSByteSize: 4096 bytes/workgroup (compile time only)
; SGPRBlocks: 3
; VGPRBlocks: 2
; NumSGPRsForWavesPerEU: 28
; NumVGPRsForWavesPerEU: 22
; AccumOffset: 24
; Occupancy: 8
; WaveLimiterHint : 0
; COMPUTE_PGM_RSRC2:SCRATCH_EN: 0
; COMPUTE_PGM_RSRC2:USER_SGPR: 6
; COMPUTE_PGM_RSRC2:TRAP_HANDLER: 0
; COMPUTE_PGM_RSRC2:TGID_X_EN: 1
; COMPUTE_PGM_RSRC2:TGID_Y_EN: 0
; COMPUTE_PGM_RSRC2:TGID_Z_EN: 0
; COMPUTE_PGM_RSRC2:TIDIG_COMP_CNT: 0
; COMPUTE_PGM_RSRC3_GFX90A:ACCUM_OFFSET: 5
; COMPUTE_PGM_RSRC3_GFX90A:TG_SPLIT: 0
	.section	.text._ZN9rocsparseL16sddmm_ell_kernelILi512ELi4EdiidddEEv20rocsparse_operation_S1_16rocsparse_order_S2_T3_S3_S3_T2_NS_24const_host_device_scalarIT1_EEPKT4_lPKT5_lS7_PT6_PKS3_21rocsparse_index_base_b,"axG",@progbits,_ZN9rocsparseL16sddmm_ell_kernelILi512ELi4EdiidddEEv20rocsparse_operation_S1_16rocsparse_order_S2_T3_S3_S3_T2_NS_24const_host_device_scalarIT1_EEPKT4_lPKT5_lS7_PT6_PKS3_21rocsparse_index_base_b,comdat
	.globl	_ZN9rocsparseL16sddmm_ell_kernelILi512ELi4EdiidddEEv20rocsparse_operation_S1_16rocsparse_order_S2_T3_S3_S3_T2_NS_24const_host_device_scalarIT1_EEPKT4_lPKT5_lS7_PT6_PKS3_21rocsparse_index_base_b ; -- Begin function _ZN9rocsparseL16sddmm_ell_kernelILi512ELi4EdiidddEEv20rocsparse_operation_S1_16rocsparse_order_S2_T3_S3_S3_T2_NS_24const_host_device_scalarIT1_EEPKT4_lPKT5_lS7_PT6_PKS3_21rocsparse_index_base_b
	.p2align	8
	.type	_ZN9rocsparseL16sddmm_ell_kernelILi512ELi4EdiidddEEv20rocsparse_operation_S1_16rocsparse_order_S2_T3_S3_S3_T2_NS_24const_host_device_scalarIT1_EEPKT4_lPKT5_lS7_PT6_PKS3_21rocsparse_index_base_b,@function
_ZN9rocsparseL16sddmm_ell_kernelILi512ELi4EdiidddEEv20rocsparse_operation_S1_16rocsparse_order_S2_T3_S3_S3_T2_NS_24const_host_device_scalarIT1_EEPKT4_lPKT5_lS7_PT6_PKS3_21rocsparse_index_base_b: ; @_ZN9rocsparseL16sddmm_ell_kernelILi512ELi4EdiidddEEv20rocsparse_operation_S1_16rocsparse_order_S2_T3_S3_S3_T2_NS_24const_host_device_scalarIT1_EEPKT4_lPKT5_lS7_PT6_PKS3_21rocsparse_index_base_b
; %bb.0:
	s_load_dwordx2 s[2:3], s[4:5], 0x60
	s_load_dwordx2 s[12:13], s[4:5], 0x20
	s_load_dwordx4 s[8:11], s[4:5], 0x40
	s_waitcnt lgkmcnt(0)
	s_bitcmp1_b32 s3, 0
	s_cselect_b64 s[14:15], -1, 0
	s_xor_b64 s[0:1], s[14:15], -1
	s_and_b64 vcc, exec, s[14:15]
	v_pk_mov_b32 v[2:3], s[12:13], s[12:13] op_sel:[0,1]
	s_cbranch_vccnz .LBB15_2
; %bb.1:
	v_pk_mov_b32 v[2:3], s[12:13], s[12:13] op_sel:[0,1]
	flat_load_dwordx2 v[2:3], v[2:3]
.LBB15_2:
	s_andn2_b64 vcc, exec, s[0:1]
	v_pk_mov_b32 v[4:5], s[10:11], s[10:11] op_sel:[0,1]
	s_cbranch_vccnz .LBB15_4
; %bb.3:
	v_pk_mov_b32 v[4:5], s[10:11], s[10:11] op_sel:[0,1]
	flat_load_dwordx2 v[4:5], v[4:5]
.LBB15_4:
	s_waitcnt vmcnt(0) lgkmcnt(0)
	v_cmp_neq_f64_e32 vcc, 0, v[2:3]
	v_cmp_neq_f64_e64 s[0:1], 1.0, v[4:5]
	s_or_b64 s[0:1], vcc, s[0:1]
	s_and_saveexec_b64 s[10:11], s[0:1]
	s_cbranch_execz .LBB15_33
; %bb.5:
	s_load_dwordx2 s[10:11], s[4:5], 0x18
	v_lshrrev_b32_e32 v14, 2, v0
	v_lshl_or_b32 v6, s6, 7, v14
	s_waitcnt lgkmcnt(0)
	v_cmp_gt_i32_e32 vcc, s11, v6
	s_and_b64 exec, exec, vcc
	s_cbranch_execz .LBB15_33
; %bb.6:
	s_load_dwordx2 s[0:1], s[4:5], 0x58
	v_ashrrev_i32_e32 v7, 31, v6
	v_lshlrev_b64 v[8:9], 2, v[6:7]
	s_waitcnt lgkmcnt(0)
	v_mov_b32_e32 v1, s1
	v_add_co_u32_e32 v8, vcc, s0, v8
	v_addc_co_u32_e32 v9, vcc, v1, v9, vcc
	global_load_dword v1, v[8:9], off
	s_waitcnt vmcnt(0)
	v_subrev_u32_e32 v8, s2, v1
	v_cmp_lt_i32_e32 vcc, -1, v8
	s_and_b64 exec, exec, vcc
	s_cbranch_execz .LBB15_33
; %bb.7:
	s_load_dwordx4 s[0:3], s[4:5], 0x0
	s_load_dword s11, s[4:5], 0x10
	v_sub_u32_e32 v9, 0, v6
	v_max_i32_e32 v9, v6, v9
	s_load_dwordx2 s[14:15], s[4:5], 0x30
	s_waitcnt lgkmcnt(0)
	s_cmp_eq_u32 s2, 1
	s_cselect_b64 s[6:7], -1, 0
	s_cmpk_eq_i32 s0, 0x6f
	s_cselect_b64 s[12:13], -1, 0
	s_cmpk_lg_i32 s0, 0x6f
	s_cselect_b64 s[16:17], -1, 0
	s_abs_i32 s0, s11
	v_cvt_f32_u32_e32 v1, s0
	s_sub_i32 s11, 0, s0
	s_cmp_lg_u32 s2, 1
	v_rcp_iflag_f32_e32 v1, v1
	v_mul_f32_e32 v1, 0x4f7ffffe, v1
	v_cvt_u32_f32_e32 v1, v1
	v_mul_lo_u32 v10, s11, v1
	v_mul_hi_u32 v10, v1, v10
	v_add_u32_e32 v1, v1, v10
	v_mul_hi_u32 v1, v9, v1
	v_mul_lo_u32 v1, v1, s0
	v_sub_u32_e32 v1, v9, v1
	v_subrev_u32_e32 v9, s0, v1
	v_cmp_le_u32_e32 vcc, s0, v1
	v_cndmask_b32_e32 v1, v1, v9, vcc
	v_subrev_u32_e32 v9, s0, v1
	v_cmp_le_u32_e32 vcc, s0, v1
	v_cndmask_b32_e32 v1, v1, v9, vcc
	v_xor_b32_e32 v1, v1, v7
	v_sub_u32_e32 v12, v1, v7
	v_ashrrev_i32_e32 v13, 31, v12
	s_cbranch_scc0 .LBB15_11
; %bb.8:
	s_andn2_b64 vcc, exec, s[12:13]
	v_pk_mov_b32 v[10:11], v[12:13], v[12:13] op_sel:[0,1]
	s_cbranch_vccnz .LBB15_10
; %bb.9:
	v_mul_lo_u32 v1, v13, s14
	v_mul_lo_u32 v9, v12, s15
	v_mad_u64_u32 v[10:11], s[18:19], v12, s14, 0
	v_add3_u32 v11, v11, v9, v1
.LBB15_10:
	s_cbranch_execz .LBB15_12
	s_branch .LBB15_15
.LBB15_11:
                                        ; implicit-def: $vgpr10_vgpr11
.LBB15_12:
	s_andn2_b64 vcc, exec, s[16:17]
	s_cbranch_vccnz .LBB15_14
; %bb.13:
	v_mul_lo_u32 v1, v13, s14
	v_mul_lo_u32 v9, v12, s15
	v_mad_u64_u32 v[12:13], s[16:17], v12, s14, 0
	v_add3_u32 v13, v13, v9, v1
.LBB15_14:
	v_pk_mov_b32 v[10:11], v[12:13], v[12:13] op_sel:[0,1]
.LBB15_15:
	s_cmp_eq_u32 s3, 1
	s_cselect_b64 s[16:17], -1, 0
	s_cmpk_eq_i32 s1, 0x6f
	s_cselect_b64 s[18:19], -1, 0
	s_cmpk_lg_i32 s1, 0x6f
	s_cselect_b64 s[0:1], -1, 0
	s_cmp_lg_u32 s3, 1
	v_mov_b32_e32 v9, 0
	s_cbranch_scc0 .LBB15_19
; %bb.16:
	s_andn2_b64 vcc, exec, s[0:1]
	v_pk_mov_b32 v[12:13], v[8:9], v[8:9] op_sel:[0,1]
	s_cbranch_vccnz .LBB15_18
; %bb.17:
	v_mad_u64_u32 v[12:13], s[0:1], v8, s8, 0
	v_mov_b32_e32 v16, v13
	v_mad_u64_u32 v[16:17], s[0:1], v8, s9, v[16:17]
	v_mov_b32_e32 v13, v16
.LBB15_18:
	s_cbranch_execz .LBB15_20
	s_branch .LBB15_23
.LBB15_19:
                                        ; implicit-def: $vgpr12_vgpr13
.LBB15_20:
	s_andn2_b64 vcc, exec, s[18:19]
	s_cbranch_vccnz .LBB15_22
; %bb.21:
	v_mad_u64_u32 v[12:13], s[0:1], v8, s8, 0
	v_mov_b32_e32 v16, v13
	v_mad_u64_u32 v[8:9], s[0:1], v8, s9, v[16:17]
	v_mov_b32_e32 v13, v8
	v_pk_mov_b32 v[8:9], v[12:13], v[12:13] op_sel:[0,1]
.LBB15_22:
	v_pk_mov_b32 v[12:13], v[8:9], v[8:9] op_sel:[0,1]
.LBB15_23:
	s_load_dwordx2 s[0:1], s[4:5], 0x50
	v_and_b32_e32 v15, 3, v0
	v_cmp_gt_i32_e32 vcc, s10, v15
	v_pk_mov_b32 v[8:9], 0, 0
	s_and_saveexec_b64 s[2:3], vcc
	s_cbranch_execz .LBB15_27
; %bb.24:
	s_load_dwordx2 s[20:21], s[4:5], 0x28
	s_load_dwordx2 s[22:23], s[4:5], 0x38
	s_xor_b64 s[4:5], s[12:13], s[6:7]
	s_and_b64 s[4:5], s[4:5], exec
	s_cselect_b32 s5, 0, s15
	s_cselect_b32 s4, 1, s14
	s_xor_b64 s[6:7], s[18:19], s[16:17]
	s_and_b64 s[6:7], s[6:7], exec
	v_and_b32_e32 v16, 3, v0
	s_cselect_b32 s7, s9, 0
	s_cselect_b32 s6, s8, 1
	v_mad_u64_u32 v[0:1], s[8:9], s4, v16, 0
	v_mov_b32_e32 v8, v1
	v_mad_u64_u32 v[8:9], s[8:9], s5, v16, v[8:9]
	v_mov_b32_e32 v1, v8
	v_lshlrev_b64 v[0:1], 3, v[0:1]
	v_lshlrev_b64 v[8:9], 3, v[10:11]
	v_add_co_u32_e32 v0, vcc, v0, v8
	v_addc_co_u32_e32 v1, vcc, v1, v9, vcc
	s_waitcnt lgkmcnt(0)
	v_mov_b32_e32 v8, s21
	v_add_co_u32_e32 v0, vcc, s20, v0
	v_addc_co_u32_e32 v1, vcc, v8, v1, vcc
	v_mad_u64_u32 v[8:9], s[8:9], s6, v16, 0
	v_mov_b32_e32 v10, v9
	v_mad_u64_u32 v[10:11], s[8:9], s7, v16, v[10:11]
	v_mov_b32_e32 v9, v10
	v_lshlrev_b64 v[8:9], 3, v[8:9]
	v_lshlrev_b64 v[10:11], 3, v[12:13]
	v_add_co_u32_e32 v8, vcc, v8, v10
	v_addc_co_u32_e32 v9, vcc, v9, v11, vcc
	s_lshl_b64 s[4:5], s[4:5], 5
	v_mov_b32_e32 v11, s23
	v_add_co_u32_e32 v10, vcc, s22, v8
	s_lshl_b64 s[8:9], s[6:7], 5
	v_addc_co_u32_e32 v11, vcc, v11, v9, vcc
	s_mov_b64 s[6:7], 0
	v_pk_mov_b32 v[8:9], 0, 0
	v_mov_b32_e32 v12, s5
	v_mov_b32_e32 v13, s9
	;; [unrolled: 1-line block ×3, first 2 shown]
.LBB15_25:                              ; =>This Inner Loop Header: Depth=1
	global_load_dwordx2 v[18:19], v[0:1], off
	global_load_dwordx2 v[20:21], v[10:11], off
	v_add_co_u32_e32 v0, vcc, s4, v0
	v_addc_co_u32_e32 v1, vcc, v1, v12, vcc
	v_add_co_u32_e32 v10, vcc, s8, v10
	v_add_u32_e32 v16, 4, v16
	v_addc_co_u32_e32 v11, vcc, v11, v13, vcc
	v_cmp_le_i32_e32 vcc, s10, v16
	s_or_b64 s[6:7], vcc, s[6:7]
	s_waitcnt vmcnt(0)
	v_fmac_f64_e32 v[8:9], v[18:19], v[20:21]
	s_andn2_b64 exec, exec, s[6:7]
	s_cbranch_execnz .LBB15_25
; %bb.26:
	s_or_b64 exec, exec, s[6:7]
.LBB15_27:
	s_or_b64 exec, exec, s[2:3]
	v_lshlrev_b32_e32 v0, 3, v15
	v_lshl_or_b32 v0, v14, 5, v0
	v_cmp_gt_u32_e32 vcc, 2, v15
	ds_write_b64 v0, v[8:9]
	s_waitcnt lgkmcnt(0)
	s_barrier
	s_and_saveexec_b64 s[2:3], vcc
	s_cbranch_execz .LBB15_29
; %bb.28:
	ds_read2_b64 v[8:11], v0 offset1:2
	s_waitcnt lgkmcnt(0)
	v_add_f64 v[8:9], v[10:11], v[8:9]
	ds_write_b64 v0, v[8:9]
.LBB15_29:
	s_or_b64 exec, exec, s[2:3]
	v_cmp_eq_u32_e32 vcc, 0, v15
	v_lshlrev_b32_e32 v1, 5, v14
	s_waitcnt lgkmcnt(0)
	s_barrier
	s_and_saveexec_b64 s[2:3], vcc
	s_cbranch_execz .LBB15_31
; %bb.30:
	ds_read_b64 v[8:9], v1 offset:8
	ds_read_b64 v[10:11], v0
	s_waitcnt lgkmcnt(0)
	v_add_f64 v[8:9], v[8:9], v[10:11]
	ds_write_b64 v0, v[8:9]
.LBB15_31:
	s_or_b64 exec, exec, s[2:3]
	s_waitcnt lgkmcnt(0)
	s_barrier
	s_and_b64 exec, exec, vcc
	s_cbranch_execz .LBB15_33
; %bb.32:
	v_lshlrev_b64 v[6:7], 3, v[6:7]
	v_mov_b32_e32 v0, s1
	v_add_co_u32_e32 v6, vcc, s0, v6
	v_addc_co_u32_e32 v7, vcc, v0, v7, vcc
	global_load_dwordx2 v[8:9], v[6:7], off
	ds_read_b64 v[0:1], v1
	s_waitcnt lgkmcnt(0)
	v_mul_f64 v[0:1], v[2:3], v[0:1]
	s_waitcnt vmcnt(0)
	v_fmac_f64_e32 v[0:1], v[4:5], v[8:9]
	global_store_dwordx2 v[6:7], v[0:1], off
.LBB15_33:
	s_endpgm
	.section	.rodata,"a",@progbits
	.p2align	6, 0x0
	.amdhsa_kernel _ZN9rocsparseL16sddmm_ell_kernelILi512ELi4EdiidddEEv20rocsparse_operation_S1_16rocsparse_order_S2_T3_S3_S3_T2_NS_24const_host_device_scalarIT1_EEPKT4_lPKT5_lS7_PT6_PKS3_21rocsparse_index_base_b
		.amdhsa_group_segment_fixed_size 4096
		.amdhsa_private_segment_fixed_size 0
		.amdhsa_kernarg_size 104
		.amdhsa_user_sgpr_count 6
		.amdhsa_user_sgpr_private_segment_buffer 1
		.amdhsa_user_sgpr_dispatch_ptr 0
		.amdhsa_user_sgpr_queue_ptr 0
		.amdhsa_user_sgpr_kernarg_segment_ptr 1
		.amdhsa_user_sgpr_dispatch_id 0
		.amdhsa_user_sgpr_flat_scratch_init 0
		.amdhsa_user_sgpr_kernarg_preload_length 0
		.amdhsa_user_sgpr_kernarg_preload_offset 0
		.amdhsa_user_sgpr_private_segment_size 0
		.amdhsa_uses_dynamic_stack 0
		.amdhsa_system_sgpr_private_segment_wavefront_offset 0
		.amdhsa_system_sgpr_workgroup_id_x 1
		.amdhsa_system_sgpr_workgroup_id_y 0
		.amdhsa_system_sgpr_workgroup_id_z 0
		.amdhsa_system_sgpr_workgroup_info 0
		.amdhsa_system_vgpr_workitem_id 0
		.amdhsa_next_free_vgpr 22
		.amdhsa_next_free_sgpr 24
		.amdhsa_accum_offset 24
		.amdhsa_reserve_vcc 1
		.amdhsa_reserve_flat_scratch 0
		.amdhsa_float_round_mode_32 0
		.amdhsa_float_round_mode_16_64 0
		.amdhsa_float_denorm_mode_32 3
		.amdhsa_float_denorm_mode_16_64 3
		.amdhsa_dx10_clamp 1
		.amdhsa_ieee_mode 1
		.amdhsa_fp16_overflow 0
		.amdhsa_tg_split 0
		.amdhsa_exception_fp_ieee_invalid_op 0
		.amdhsa_exception_fp_denorm_src 0
		.amdhsa_exception_fp_ieee_div_zero 0
		.amdhsa_exception_fp_ieee_overflow 0
		.amdhsa_exception_fp_ieee_underflow 0
		.amdhsa_exception_fp_ieee_inexact 0
		.amdhsa_exception_int_div_zero 0
	.end_amdhsa_kernel
	.section	.text._ZN9rocsparseL16sddmm_ell_kernelILi512ELi4EdiidddEEv20rocsparse_operation_S1_16rocsparse_order_S2_T3_S3_S3_T2_NS_24const_host_device_scalarIT1_EEPKT4_lPKT5_lS7_PT6_PKS3_21rocsparse_index_base_b,"axG",@progbits,_ZN9rocsparseL16sddmm_ell_kernelILi512ELi4EdiidddEEv20rocsparse_operation_S1_16rocsparse_order_S2_T3_S3_S3_T2_NS_24const_host_device_scalarIT1_EEPKT4_lPKT5_lS7_PT6_PKS3_21rocsparse_index_base_b,comdat
.Lfunc_end15:
	.size	_ZN9rocsparseL16sddmm_ell_kernelILi512ELi4EdiidddEEv20rocsparse_operation_S1_16rocsparse_order_S2_T3_S3_S3_T2_NS_24const_host_device_scalarIT1_EEPKT4_lPKT5_lS7_PT6_PKS3_21rocsparse_index_base_b, .Lfunc_end15-_ZN9rocsparseL16sddmm_ell_kernelILi512ELi4EdiidddEEv20rocsparse_operation_S1_16rocsparse_order_S2_T3_S3_S3_T2_NS_24const_host_device_scalarIT1_EEPKT4_lPKT5_lS7_PT6_PKS3_21rocsparse_index_base_b
                                        ; -- End function
	.section	.AMDGPU.csdata,"",@progbits
; Kernel info:
; codeLenInByte = 1168
; NumSgprs: 28
; NumVgprs: 22
; NumAgprs: 0
; TotalNumVgprs: 22
; ScratchSize: 0
; MemoryBound: 0
; FloatMode: 240
; IeeeMode: 1
; LDSByteSize: 4096 bytes/workgroup (compile time only)
; SGPRBlocks: 3
; VGPRBlocks: 2
; NumSGPRsForWavesPerEU: 28
; NumVGPRsForWavesPerEU: 22
; AccumOffset: 24
; Occupancy: 8
; WaveLimiterHint : 0
; COMPUTE_PGM_RSRC2:SCRATCH_EN: 0
; COMPUTE_PGM_RSRC2:USER_SGPR: 6
; COMPUTE_PGM_RSRC2:TRAP_HANDLER: 0
; COMPUTE_PGM_RSRC2:TGID_X_EN: 1
; COMPUTE_PGM_RSRC2:TGID_Y_EN: 0
; COMPUTE_PGM_RSRC2:TGID_Z_EN: 0
; COMPUTE_PGM_RSRC2:TIDIG_COMP_CNT: 0
; COMPUTE_PGM_RSRC3_GFX90A:ACCUM_OFFSET: 5
; COMPUTE_PGM_RSRC3_GFX90A:TG_SPLIT: 0
	.section	.text._ZN9rocsparseL16sddmm_ell_kernelILi512ELi2EdiidddEEv20rocsparse_operation_S1_16rocsparse_order_S2_T3_S3_S3_T2_NS_24const_host_device_scalarIT1_EEPKT4_lPKT5_lS7_PT6_PKS3_21rocsparse_index_base_b,"axG",@progbits,_ZN9rocsparseL16sddmm_ell_kernelILi512ELi2EdiidddEEv20rocsparse_operation_S1_16rocsparse_order_S2_T3_S3_S3_T2_NS_24const_host_device_scalarIT1_EEPKT4_lPKT5_lS7_PT6_PKS3_21rocsparse_index_base_b,comdat
	.globl	_ZN9rocsparseL16sddmm_ell_kernelILi512ELi2EdiidddEEv20rocsparse_operation_S1_16rocsparse_order_S2_T3_S3_S3_T2_NS_24const_host_device_scalarIT1_EEPKT4_lPKT5_lS7_PT6_PKS3_21rocsparse_index_base_b ; -- Begin function _ZN9rocsparseL16sddmm_ell_kernelILi512ELi2EdiidddEEv20rocsparse_operation_S1_16rocsparse_order_S2_T3_S3_S3_T2_NS_24const_host_device_scalarIT1_EEPKT4_lPKT5_lS7_PT6_PKS3_21rocsparse_index_base_b
	.p2align	8
	.type	_ZN9rocsparseL16sddmm_ell_kernelILi512ELi2EdiidddEEv20rocsparse_operation_S1_16rocsparse_order_S2_T3_S3_S3_T2_NS_24const_host_device_scalarIT1_EEPKT4_lPKT5_lS7_PT6_PKS3_21rocsparse_index_base_b,@function
_ZN9rocsparseL16sddmm_ell_kernelILi512ELi2EdiidddEEv20rocsparse_operation_S1_16rocsparse_order_S2_T3_S3_S3_T2_NS_24const_host_device_scalarIT1_EEPKT4_lPKT5_lS7_PT6_PKS3_21rocsparse_index_base_b: ; @_ZN9rocsparseL16sddmm_ell_kernelILi512ELi2EdiidddEEv20rocsparse_operation_S1_16rocsparse_order_S2_T3_S3_S3_T2_NS_24const_host_device_scalarIT1_EEPKT4_lPKT5_lS7_PT6_PKS3_21rocsparse_index_base_b
; %bb.0:
	s_load_dwordx2 s[2:3], s[4:5], 0x60
	s_load_dwordx2 s[12:13], s[4:5], 0x20
	s_load_dwordx4 s[8:11], s[4:5], 0x40
	s_waitcnt lgkmcnt(0)
	s_bitcmp1_b32 s3, 0
	s_cselect_b64 s[14:15], -1, 0
	s_xor_b64 s[0:1], s[14:15], -1
	s_and_b64 vcc, exec, s[14:15]
	v_pk_mov_b32 v[2:3], s[12:13], s[12:13] op_sel:[0,1]
	s_cbranch_vccnz .LBB16_2
; %bb.1:
	v_pk_mov_b32 v[2:3], s[12:13], s[12:13] op_sel:[0,1]
	flat_load_dwordx2 v[2:3], v[2:3]
.LBB16_2:
	s_andn2_b64 vcc, exec, s[0:1]
	v_pk_mov_b32 v[4:5], s[10:11], s[10:11] op_sel:[0,1]
	s_cbranch_vccnz .LBB16_4
; %bb.3:
	v_pk_mov_b32 v[4:5], s[10:11], s[10:11] op_sel:[0,1]
	flat_load_dwordx2 v[4:5], v[4:5]
.LBB16_4:
	s_waitcnt vmcnt(0) lgkmcnt(0)
	v_cmp_neq_f64_e32 vcc, 0, v[2:3]
	v_cmp_neq_f64_e64 s[0:1], 1.0, v[4:5]
	s_or_b64 s[0:1], vcc, s[0:1]
	s_and_saveexec_b64 s[10:11], s[0:1]
	s_cbranch_execz .LBB16_31
; %bb.5:
	s_load_dwordx2 s[10:11], s[4:5], 0x18
	v_lshrrev_b32_e32 v14, 1, v0
	v_lshl_or_b32 v6, s6, 8, v14
	s_waitcnt lgkmcnt(0)
	v_cmp_gt_i32_e32 vcc, s11, v6
	s_and_b64 exec, exec, vcc
	s_cbranch_execz .LBB16_31
; %bb.6:
	s_load_dwordx2 s[0:1], s[4:5], 0x58
	v_ashrrev_i32_e32 v7, 31, v6
	v_lshlrev_b64 v[8:9], 2, v[6:7]
	s_waitcnt lgkmcnt(0)
	v_mov_b32_e32 v1, s1
	v_add_co_u32_e32 v8, vcc, s0, v8
	v_addc_co_u32_e32 v9, vcc, v1, v9, vcc
	global_load_dword v1, v[8:9], off
	s_waitcnt vmcnt(0)
	v_subrev_u32_e32 v8, s2, v1
	v_cmp_lt_i32_e32 vcc, -1, v8
	s_and_b64 exec, exec, vcc
	s_cbranch_execz .LBB16_31
; %bb.7:
	s_load_dwordx4 s[0:3], s[4:5], 0x0
	s_load_dword s11, s[4:5], 0x10
	v_sub_u32_e32 v9, 0, v6
	v_max_i32_e32 v9, v6, v9
	s_load_dwordx2 s[14:15], s[4:5], 0x30
	s_waitcnt lgkmcnt(0)
	s_cmp_eq_u32 s2, 1
	s_cselect_b64 s[6:7], -1, 0
	s_cmpk_eq_i32 s0, 0x6f
	s_cselect_b64 s[12:13], -1, 0
	s_cmpk_lg_i32 s0, 0x6f
	s_cselect_b64 s[16:17], -1, 0
	s_abs_i32 s0, s11
	v_cvt_f32_u32_e32 v1, s0
	s_sub_i32 s11, 0, s0
	s_cmp_lg_u32 s2, 1
	v_rcp_iflag_f32_e32 v1, v1
	v_mul_f32_e32 v1, 0x4f7ffffe, v1
	v_cvt_u32_f32_e32 v1, v1
	v_mul_lo_u32 v10, s11, v1
	v_mul_hi_u32 v10, v1, v10
	v_add_u32_e32 v1, v1, v10
	v_mul_hi_u32 v1, v9, v1
	v_mul_lo_u32 v1, v1, s0
	v_sub_u32_e32 v1, v9, v1
	v_subrev_u32_e32 v9, s0, v1
	v_cmp_le_u32_e32 vcc, s0, v1
	v_cndmask_b32_e32 v1, v1, v9, vcc
	v_subrev_u32_e32 v9, s0, v1
	v_cmp_le_u32_e32 vcc, s0, v1
	v_cndmask_b32_e32 v1, v1, v9, vcc
	v_xor_b32_e32 v1, v1, v7
	v_sub_u32_e32 v12, v1, v7
	v_ashrrev_i32_e32 v13, 31, v12
	s_cbranch_scc0 .LBB16_11
; %bb.8:
	s_andn2_b64 vcc, exec, s[12:13]
	v_pk_mov_b32 v[10:11], v[12:13], v[12:13] op_sel:[0,1]
	s_cbranch_vccnz .LBB16_10
; %bb.9:
	v_mul_lo_u32 v1, v13, s14
	v_mul_lo_u32 v9, v12, s15
	v_mad_u64_u32 v[10:11], s[18:19], v12, s14, 0
	v_add3_u32 v11, v11, v9, v1
.LBB16_10:
	s_cbranch_execz .LBB16_12
	s_branch .LBB16_15
.LBB16_11:
                                        ; implicit-def: $vgpr10_vgpr11
.LBB16_12:
	s_andn2_b64 vcc, exec, s[16:17]
	s_cbranch_vccnz .LBB16_14
; %bb.13:
	v_mul_lo_u32 v1, v13, s14
	v_mul_lo_u32 v9, v12, s15
	v_mad_u64_u32 v[12:13], s[16:17], v12, s14, 0
	v_add3_u32 v13, v13, v9, v1
.LBB16_14:
	v_pk_mov_b32 v[10:11], v[12:13], v[12:13] op_sel:[0,1]
.LBB16_15:
	s_cmp_eq_u32 s3, 1
	s_cselect_b64 s[16:17], -1, 0
	s_cmpk_eq_i32 s1, 0x6f
	s_cselect_b64 s[18:19], -1, 0
	s_cmpk_lg_i32 s1, 0x6f
	s_cselect_b64 s[0:1], -1, 0
	s_cmp_lg_u32 s3, 1
	v_mov_b32_e32 v9, 0
	s_cbranch_scc0 .LBB16_19
; %bb.16:
	s_andn2_b64 vcc, exec, s[0:1]
	v_pk_mov_b32 v[12:13], v[8:9], v[8:9] op_sel:[0,1]
	s_cbranch_vccnz .LBB16_18
; %bb.17:
	v_mad_u64_u32 v[12:13], s[0:1], v8, s8, 0
	v_mov_b32_e32 v16, v13
	v_mad_u64_u32 v[16:17], s[0:1], v8, s9, v[16:17]
	v_mov_b32_e32 v13, v16
.LBB16_18:
	s_cbranch_execz .LBB16_20
	s_branch .LBB16_23
.LBB16_19:
                                        ; implicit-def: $vgpr12_vgpr13
.LBB16_20:
	s_andn2_b64 vcc, exec, s[18:19]
	s_cbranch_vccnz .LBB16_22
; %bb.21:
	v_mad_u64_u32 v[12:13], s[0:1], v8, s8, 0
	v_mov_b32_e32 v16, v13
	v_mad_u64_u32 v[8:9], s[0:1], v8, s9, v[16:17]
	v_mov_b32_e32 v13, v8
	v_pk_mov_b32 v[8:9], v[12:13], v[12:13] op_sel:[0,1]
.LBB16_22:
	v_pk_mov_b32 v[12:13], v[8:9], v[8:9] op_sel:[0,1]
.LBB16_23:
	s_load_dwordx2 s[0:1], s[4:5], 0x50
	v_and_b32_e32 v15, 1, v0
	v_cmp_gt_i32_e32 vcc, s10, v15
	v_pk_mov_b32 v[8:9], 0, 0
	s_and_saveexec_b64 s[2:3], vcc
	s_cbranch_execz .LBB16_27
; %bb.24:
	s_load_dwordx2 s[20:21], s[4:5], 0x28
	s_load_dwordx2 s[22:23], s[4:5], 0x38
	s_xor_b64 s[4:5], s[12:13], s[6:7]
	s_and_b64 s[4:5], s[4:5], exec
	s_cselect_b32 s5, 0, s15
	s_cselect_b32 s4, 1, s14
	v_and_b32_e32 v16, 1, v0
	v_mul_lo_u32 v1, s5, v16
	v_mul_lo_u32 v0, s4, v16
	v_lshlrev_b64 v[0:1], 3, v[0:1]
	v_lshlrev_b64 v[8:9], 3, v[10:11]
	s_xor_b64 s[6:7], s[18:19], s[16:17]
	v_add_co_u32_e32 v0, vcc, v0, v8
	s_and_b64 s[6:7], s[6:7], exec
	v_addc_co_u32_e32 v1, vcc, v1, v9, vcc
	s_cselect_b32 s7, s9, 0
	s_cselect_b32 s6, s8, 1
	s_waitcnt lgkmcnt(0)
	v_mov_b32_e32 v8, s21
	v_add_co_u32_e32 v0, vcc, s20, v0
	v_addc_co_u32_e32 v1, vcc, v8, v1, vcc
	v_mul_lo_u32 v9, s7, v16
	v_mul_lo_u32 v8, s6, v16
	v_lshlrev_b64 v[8:9], 3, v[8:9]
	v_lshlrev_b64 v[10:11], 3, v[12:13]
	v_add_co_u32_e32 v8, vcc, v8, v10
	v_addc_co_u32_e32 v9, vcc, v9, v11, vcc
	s_lshl_b64 s[4:5], s[4:5], 4
	v_mov_b32_e32 v11, s23
	v_add_co_u32_e32 v10, vcc, s22, v8
	s_lshl_b64 s[8:9], s[6:7], 4
	v_addc_co_u32_e32 v11, vcc, v11, v9, vcc
	s_mov_b64 s[6:7], 0
	v_pk_mov_b32 v[8:9], 0, 0
	v_mov_b32_e32 v12, s5
	v_mov_b32_e32 v13, s9
	v_mov_b32_e32 v16, v15
.LBB16_25:                              ; =>This Inner Loop Header: Depth=1
	global_load_dwordx2 v[18:19], v[0:1], off
	global_load_dwordx2 v[20:21], v[10:11], off
	v_add_co_u32_e32 v0, vcc, s4, v0
	v_addc_co_u32_e32 v1, vcc, v1, v12, vcc
	v_add_co_u32_e32 v10, vcc, s8, v10
	v_add_u32_e32 v16, 2, v16
	v_addc_co_u32_e32 v11, vcc, v11, v13, vcc
	v_cmp_le_i32_e32 vcc, s10, v16
	s_or_b64 s[6:7], vcc, s[6:7]
	s_waitcnt vmcnt(0)
	v_fmac_f64_e32 v[8:9], v[18:19], v[20:21]
	s_andn2_b64 exec, exec, s[6:7]
	s_cbranch_execnz .LBB16_25
; %bb.26:
	s_or_b64 exec, exec, s[6:7]
.LBB16_27:
	s_or_b64 exec, exec, s[2:3]
	v_lshlrev_b32_e32 v0, 4, v14
	v_lshl_or_b32 v1, v15, 3, v0
	v_cmp_eq_u32_e32 vcc, 0, v15
	ds_write_b64 v1, v[8:9]
	s_waitcnt lgkmcnt(0)
	s_barrier
	s_and_saveexec_b64 s[2:3], vcc
	s_cbranch_execz .LBB16_29
; %bb.28:
	ds_read_b64 v[8:9], v0 offset:8
	ds_read_b64 v[10:11], v1
	s_waitcnt lgkmcnt(0)
	v_add_f64 v[8:9], v[8:9], v[10:11]
	ds_write_b64 v1, v[8:9]
.LBB16_29:
	s_or_b64 exec, exec, s[2:3]
	s_waitcnt lgkmcnt(0)
	s_barrier
	s_and_b64 exec, exec, vcc
	s_cbranch_execz .LBB16_31
; %bb.30:
	v_lshlrev_b64 v[6:7], 3, v[6:7]
	v_mov_b32_e32 v1, s1
	v_add_co_u32_e32 v6, vcc, s0, v6
	v_addc_co_u32_e32 v7, vcc, v1, v7, vcc
	global_load_dwordx2 v[8:9], v[6:7], off
	ds_read_b64 v[0:1], v0
	s_waitcnt lgkmcnt(0)
	v_mul_f64 v[0:1], v[2:3], v[0:1]
	s_waitcnt vmcnt(0)
	v_fmac_f64_e32 v[0:1], v[4:5], v[8:9]
	global_store_dwordx2 v[6:7], v[0:1], off
.LBB16_31:
	s_endpgm
	.section	.rodata,"a",@progbits
	.p2align	6, 0x0
	.amdhsa_kernel _ZN9rocsparseL16sddmm_ell_kernelILi512ELi2EdiidddEEv20rocsparse_operation_S1_16rocsparse_order_S2_T3_S3_S3_T2_NS_24const_host_device_scalarIT1_EEPKT4_lPKT5_lS7_PT6_PKS3_21rocsparse_index_base_b
		.amdhsa_group_segment_fixed_size 4096
		.amdhsa_private_segment_fixed_size 0
		.amdhsa_kernarg_size 104
		.amdhsa_user_sgpr_count 6
		.amdhsa_user_sgpr_private_segment_buffer 1
		.amdhsa_user_sgpr_dispatch_ptr 0
		.amdhsa_user_sgpr_queue_ptr 0
		.amdhsa_user_sgpr_kernarg_segment_ptr 1
		.amdhsa_user_sgpr_dispatch_id 0
		.amdhsa_user_sgpr_flat_scratch_init 0
		.amdhsa_user_sgpr_kernarg_preload_length 0
		.amdhsa_user_sgpr_kernarg_preload_offset 0
		.amdhsa_user_sgpr_private_segment_size 0
		.amdhsa_uses_dynamic_stack 0
		.amdhsa_system_sgpr_private_segment_wavefront_offset 0
		.amdhsa_system_sgpr_workgroup_id_x 1
		.amdhsa_system_sgpr_workgroup_id_y 0
		.amdhsa_system_sgpr_workgroup_id_z 0
		.amdhsa_system_sgpr_workgroup_info 0
		.amdhsa_system_vgpr_workitem_id 0
		.amdhsa_next_free_vgpr 22
		.amdhsa_next_free_sgpr 24
		.amdhsa_accum_offset 24
		.amdhsa_reserve_vcc 1
		.amdhsa_reserve_flat_scratch 0
		.amdhsa_float_round_mode_32 0
		.amdhsa_float_round_mode_16_64 0
		.amdhsa_float_denorm_mode_32 3
		.amdhsa_float_denorm_mode_16_64 3
		.amdhsa_dx10_clamp 1
		.amdhsa_ieee_mode 1
		.amdhsa_fp16_overflow 0
		.amdhsa_tg_split 0
		.amdhsa_exception_fp_ieee_invalid_op 0
		.amdhsa_exception_fp_denorm_src 0
		.amdhsa_exception_fp_ieee_div_zero 0
		.amdhsa_exception_fp_ieee_overflow 0
		.amdhsa_exception_fp_ieee_underflow 0
		.amdhsa_exception_fp_ieee_inexact 0
		.amdhsa_exception_int_div_zero 0
	.end_amdhsa_kernel
	.section	.text._ZN9rocsparseL16sddmm_ell_kernelILi512ELi2EdiidddEEv20rocsparse_operation_S1_16rocsparse_order_S2_T3_S3_S3_T2_NS_24const_host_device_scalarIT1_EEPKT4_lPKT5_lS7_PT6_PKS3_21rocsparse_index_base_b,"axG",@progbits,_ZN9rocsparseL16sddmm_ell_kernelILi512ELi2EdiidddEEv20rocsparse_operation_S1_16rocsparse_order_S2_T3_S3_S3_T2_NS_24const_host_device_scalarIT1_EEPKT4_lPKT5_lS7_PT6_PKS3_21rocsparse_index_base_b,comdat
.Lfunc_end16:
	.size	_ZN9rocsparseL16sddmm_ell_kernelILi512ELi2EdiidddEEv20rocsparse_operation_S1_16rocsparse_order_S2_T3_S3_S3_T2_NS_24const_host_device_scalarIT1_EEPKT4_lPKT5_lS7_PT6_PKS3_21rocsparse_index_base_b, .Lfunc_end16-_ZN9rocsparseL16sddmm_ell_kernelILi512ELi2EdiidddEEv20rocsparse_operation_S1_16rocsparse_order_S2_T3_S3_S3_T2_NS_24const_host_device_scalarIT1_EEPKT4_lPKT5_lS7_PT6_PKS3_21rocsparse_index_base_b
                                        ; -- End function
	.section	.AMDGPU.csdata,"",@progbits
; Kernel info:
; codeLenInByte = 1096
; NumSgprs: 28
; NumVgprs: 22
; NumAgprs: 0
; TotalNumVgprs: 22
; ScratchSize: 0
; MemoryBound: 0
; FloatMode: 240
; IeeeMode: 1
; LDSByteSize: 4096 bytes/workgroup (compile time only)
; SGPRBlocks: 3
; VGPRBlocks: 2
; NumSGPRsForWavesPerEU: 28
; NumVGPRsForWavesPerEU: 22
; AccumOffset: 24
; Occupancy: 8
; WaveLimiterHint : 0
; COMPUTE_PGM_RSRC2:SCRATCH_EN: 0
; COMPUTE_PGM_RSRC2:USER_SGPR: 6
; COMPUTE_PGM_RSRC2:TRAP_HANDLER: 0
; COMPUTE_PGM_RSRC2:TGID_X_EN: 1
; COMPUTE_PGM_RSRC2:TGID_Y_EN: 0
; COMPUTE_PGM_RSRC2:TGID_Z_EN: 0
; COMPUTE_PGM_RSRC2:TIDIG_COMP_CNT: 0
; COMPUTE_PGM_RSRC3_GFX90A:ACCUM_OFFSET: 5
; COMPUTE_PGM_RSRC3_GFX90A:TG_SPLIT: 0
	.section	.text._ZN9rocsparseL16sddmm_ell_kernelILi512ELi1EdiidddEEv20rocsparse_operation_S1_16rocsparse_order_S2_T3_S3_S3_T2_NS_24const_host_device_scalarIT1_EEPKT4_lPKT5_lS7_PT6_PKS3_21rocsparse_index_base_b,"axG",@progbits,_ZN9rocsparseL16sddmm_ell_kernelILi512ELi1EdiidddEEv20rocsparse_operation_S1_16rocsparse_order_S2_T3_S3_S3_T2_NS_24const_host_device_scalarIT1_EEPKT4_lPKT5_lS7_PT6_PKS3_21rocsparse_index_base_b,comdat
	.globl	_ZN9rocsparseL16sddmm_ell_kernelILi512ELi1EdiidddEEv20rocsparse_operation_S1_16rocsparse_order_S2_T3_S3_S3_T2_NS_24const_host_device_scalarIT1_EEPKT4_lPKT5_lS7_PT6_PKS3_21rocsparse_index_base_b ; -- Begin function _ZN9rocsparseL16sddmm_ell_kernelILi512ELi1EdiidddEEv20rocsparse_operation_S1_16rocsparse_order_S2_T3_S3_S3_T2_NS_24const_host_device_scalarIT1_EEPKT4_lPKT5_lS7_PT6_PKS3_21rocsparse_index_base_b
	.p2align	8
	.type	_ZN9rocsparseL16sddmm_ell_kernelILi512ELi1EdiidddEEv20rocsparse_operation_S1_16rocsparse_order_S2_T3_S3_S3_T2_NS_24const_host_device_scalarIT1_EEPKT4_lPKT5_lS7_PT6_PKS3_21rocsparse_index_base_b,@function
_ZN9rocsparseL16sddmm_ell_kernelILi512ELi1EdiidddEEv20rocsparse_operation_S1_16rocsparse_order_S2_T3_S3_S3_T2_NS_24const_host_device_scalarIT1_EEPKT4_lPKT5_lS7_PT6_PKS3_21rocsparse_index_base_b: ; @_ZN9rocsparseL16sddmm_ell_kernelILi512ELi1EdiidddEEv20rocsparse_operation_S1_16rocsparse_order_S2_T3_S3_S3_T2_NS_24const_host_device_scalarIT1_EEPKT4_lPKT5_lS7_PT6_PKS3_21rocsparse_index_base_b
; %bb.0:
	s_load_dwordx2 s[2:3], s[4:5], 0x60
	s_load_dwordx2 s[12:13], s[4:5], 0x20
	s_load_dwordx4 s[8:11], s[4:5], 0x40
	s_waitcnt lgkmcnt(0)
	s_bitcmp1_b32 s3, 0
	s_cselect_b64 s[14:15], -1, 0
	s_xor_b64 s[0:1], s[14:15], -1
	s_and_b64 vcc, exec, s[14:15]
	v_pk_mov_b32 v[2:3], s[12:13], s[12:13] op_sel:[0,1]
	s_cbranch_vccnz .LBB17_2
; %bb.1:
	v_pk_mov_b32 v[2:3], s[12:13], s[12:13] op_sel:[0,1]
	flat_load_dwordx2 v[2:3], v[2:3]
.LBB17_2:
	s_andn2_b64 vcc, exec, s[0:1]
	v_pk_mov_b32 v[4:5], s[10:11], s[10:11] op_sel:[0,1]
	s_cbranch_vccnz .LBB17_4
; %bb.3:
	v_pk_mov_b32 v[4:5], s[10:11], s[10:11] op_sel:[0,1]
	flat_load_dwordx2 v[4:5], v[4:5]
.LBB17_4:
	s_waitcnt vmcnt(0) lgkmcnt(0)
	v_cmp_neq_f64_e32 vcc, 0, v[2:3]
	v_cmp_neq_f64_e64 s[0:1], 1.0, v[4:5]
	s_or_b64 s[0:1], vcc, s[0:1]
	s_and_saveexec_b64 s[10:11], s[0:1]
	s_cbranch_execz .LBB17_28
; %bb.5:
	s_load_dwordx2 s[10:11], s[4:5], 0x18
	v_lshl_or_b32 v6, s6, 9, v0
	s_waitcnt lgkmcnt(0)
	v_cmp_gt_i32_e32 vcc, s11, v6
	s_and_b64 exec, exec, vcc
	s_cbranch_execz .LBB17_28
; %bb.6:
	s_load_dwordx2 s[0:1], s[4:5], 0x58
	v_ashrrev_i32_e32 v7, 31, v6
	v_lshlrev_b64 v[8:9], 2, v[6:7]
	s_waitcnt lgkmcnt(0)
	v_mov_b32_e32 v1, s1
	v_add_co_u32_e32 v8, vcc, s0, v8
	v_addc_co_u32_e32 v9, vcc, v1, v9, vcc
	global_load_dword v1, v[8:9], off
	s_waitcnt vmcnt(0)
	v_subrev_u32_e32 v8, s2, v1
	v_cmp_lt_i32_e32 vcc, -1, v8
	s_and_b64 exec, exec, vcc
	s_cbranch_execz .LBB17_28
; %bb.7:
	s_load_dwordx4 s[0:3], s[4:5], 0x0
	s_load_dword s11, s[4:5], 0x10
	v_sub_u32_e32 v9, 0, v6
	v_max_i32_e32 v9, v6, v9
	s_load_dwordx2 s[14:15], s[4:5], 0x30
	s_waitcnt lgkmcnt(0)
	s_cmp_eq_u32 s2, 1
	s_cselect_b64 s[6:7], -1, 0
	s_cmpk_eq_i32 s0, 0x6f
	s_cselect_b64 s[12:13], -1, 0
	s_cmpk_lg_i32 s0, 0x6f
	s_cselect_b64 s[16:17], -1, 0
	s_abs_i32 s0, s11
	v_cvt_f32_u32_e32 v1, s0
	s_sub_i32 s11, 0, s0
	s_cmp_lg_u32 s2, 1
	v_rcp_iflag_f32_e32 v1, v1
	v_mul_f32_e32 v1, 0x4f7ffffe, v1
	v_cvt_u32_f32_e32 v1, v1
	v_mul_lo_u32 v10, s11, v1
	v_mul_hi_u32 v10, v1, v10
	v_add_u32_e32 v1, v1, v10
	v_mul_hi_u32 v1, v9, v1
	v_mul_lo_u32 v1, v1, s0
	v_sub_u32_e32 v1, v9, v1
	v_subrev_u32_e32 v9, s0, v1
	v_cmp_le_u32_e32 vcc, s0, v1
	v_cndmask_b32_e32 v1, v1, v9, vcc
	v_subrev_u32_e32 v9, s0, v1
	v_cmp_le_u32_e32 vcc, s0, v1
	v_cndmask_b32_e32 v1, v1, v9, vcc
	v_xor_b32_e32 v1, v1, v7
	v_sub_u32_e32 v12, v1, v7
	v_ashrrev_i32_e32 v13, 31, v12
	s_cbranch_scc0 .LBB17_11
; %bb.8:
	s_andn2_b64 vcc, exec, s[12:13]
	v_pk_mov_b32 v[10:11], v[12:13], v[12:13] op_sel:[0,1]
	s_cbranch_vccnz .LBB17_10
; %bb.9:
	v_mul_lo_u32 v1, v13, s14
	v_mul_lo_u32 v9, v12, s15
	v_mad_u64_u32 v[10:11], s[18:19], v12, s14, 0
	v_add3_u32 v11, v11, v9, v1
.LBB17_10:
	s_cbranch_execz .LBB17_12
	s_branch .LBB17_15
.LBB17_11:
                                        ; implicit-def: $vgpr10_vgpr11
.LBB17_12:
	s_andn2_b64 vcc, exec, s[16:17]
	s_cbranch_vccnz .LBB17_14
; %bb.13:
	v_mul_lo_u32 v1, v13, s14
	v_mul_lo_u32 v9, v12, s15
	v_mad_u64_u32 v[12:13], s[16:17], v12, s14, 0
	v_add3_u32 v13, v13, v9, v1
.LBB17_14:
	v_pk_mov_b32 v[10:11], v[12:13], v[12:13] op_sel:[0,1]
.LBB17_15:
	s_cmp_eq_u32 s3, 1
	s_cselect_b64 s[16:17], -1, 0
	s_cmpk_eq_i32 s1, 0x6f
	s_cselect_b64 s[18:19], -1, 0
	s_cmpk_lg_i32 s1, 0x6f
	s_cselect_b64 s[0:1], -1, 0
	s_cmp_lg_u32 s3, 1
	v_mov_b32_e32 v9, 0
	s_cbranch_scc0 .LBB17_19
; %bb.16:
	s_andn2_b64 vcc, exec, s[0:1]
	v_pk_mov_b32 v[12:13], v[8:9], v[8:9] op_sel:[0,1]
	s_cbranch_vccnz .LBB17_18
; %bb.17:
	v_mad_u64_u32 v[12:13], s[0:1], v8, s8, 0
	v_mov_b32_e32 v14, v13
	v_mad_u64_u32 v[14:15], s[0:1], v8, s9, v[14:15]
	v_mov_b32_e32 v13, v14
.LBB17_18:
	s_cbranch_execz .LBB17_20
	s_branch .LBB17_23
.LBB17_19:
                                        ; implicit-def: $vgpr12_vgpr13
.LBB17_20:
	s_andn2_b64 vcc, exec, s[18:19]
	s_cbranch_vccnz .LBB17_22
; %bb.21:
	v_mad_u64_u32 v[12:13], s[0:1], v8, s8, 0
	v_mov_b32_e32 v14, v13
	v_mad_u64_u32 v[8:9], s[0:1], v8, s9, v[14:15]
	v_mov_b32_e32 v13, v8
	v_pk_mov_b32 v[8:9], v[12:13], v[12:13] op_sel:[0,1]
.LBB17_22:
	v_pk_mov_b32 v[12:13], v[8:9], v[8:9] op_sel:[0,1]
.LBB17_23:
	s_load_dwordx2 s[0:1], s[4:5], 0x50
	s_cmp_lt_i32 s10, 1
	s_cbranch_scc1 .LBB17_26
; %bb.24:
	s_load_dwordx2 s[2:3], s[4:5], 0x38
	s_load_dwordx2 s[20:21], s[4:5], 0x28
	v_lshlrev_b64 v[8:9], 3, v[12:13]
	v_lshlrev_b64 v[10:11], 3, v[10:11]
	v_pk_mov_b32 v[12:13], 0, 0
	s_waitcnt lgkmcnt(0)
	v_mov_b32_e32 v1, s3
	v_add_co_u32_e32 v8, vcc, s2, v8
	s_xor_b64 s[2:3], s[12:13], s[6:7]
	s_and_b64 s[2:3], s[2:3], exec
	s_cselect_b32 s3, 0, s15
	s_cselect_b32 s2, 1, s14
	s_xor_b64 s[4:5], s[18:19], s[16:17]
	s_and_b64 s[4:5], s[4:5], exec
	v_addc_co_u32_e32 v9, vcc, v1, v9, vcc
	s_cselect_b32 s5, s9, 0
	s_cselect_b32 s4, s8, 1
	v_mov_b32_e32 v1, s21
	v_add_co_u32_e32 v10, vcc, s20, v10
	s_lshl_b64 s[2:3], s[2:3], 3
	s_lshl_b64 s[4:5], s[4:5], 3
	v_addc_co_u32_e32 v11, vcc, v1, v11, vcc
	v_mov_b32_e32 v1, s3
	v_mov_b32_e32 v14, s5
.LBB17_25:                              ; =>This Inner Loop Header: Depth=1
	global_load_dwordx2 v[16:17], v[10:11], off
	global_load_dwordx2 v[18:19], v[8:9], off
	v_add_co_u32_e32 v10, vcc, s2, v10
	v_addc_co_u32_e32 v11, vcc, v11, v1, vcc
	s_add_i32 s10, s10, -1
	v_add_co_u32_e32 v8, vcc, s4, v8
	v_addc_co_u32_e32 v9, vcc, v9, v14, vcc
	s_cmp_eq_u32 s10, 0
	s_waitcnt vmcnt(0)
	v_fmac_f64_e32 v[12:13], v[16:17], v[18:19]
	s_cbranch_scc0 .LBB17_25
	s_branch .LBB17_27
.LBB17_26:
	v_pk_mov_b32 v[12:13], 0, 0
.LBB17_27:
	v_lshlrev_b32_e32 v8, 3, v0
	v_lshlrev_b64 v[0:1], 3, v[6:7]
	s_waitcnt lgkmcnt(0)
	v_mov_b32_e32 v6, s1
	v_add_co_u32_e32 v0, vcc, s0, v0
	v_addc_co_u32_e32 v1, vcc, v6, v1, vcc
	ds_write_b64 v8, v[12:13]
	s_waitcnt lgkmcnt(0)
	s_barrier
	global_load_dwordx2 v[6:7], v[0:1], off
	ds_read_b64 v[8:9], v8
	s_waitcnt lgkmcnt(0)
	v_mul_f64 v[2:3], v[2:3], v[8:9]
	s_waitcnt vmcnt(0)
	v_fmac_f64_e32 v[2:3], v[4:5], v[6:7]
	global_store_dwordx2 v[0:1], v[2:3], off
.LBB17_28:
	s_endpgm
	.section	.rodata,"a",@progbits
	.p2align	6, 0x0
	.amdhsa_kernel _ZN9rocsparseL16sddmm_ell_kernelILi512ELi1EdiidddEEv20rocsparse_operation_S1_16rocsparse_order_S2_T3_S3_S3_T2_NS_24const_host_device_scalarIT1_EEPKT4_lPKT5_lS7_PT6_PKS3_21rocsparse_index_base_b
		.amdhsa_group_segment_fixed_size 4096
		.amdhsa_private_segment_fixed_size 0
		.amdhsa_kernarg_size 104
		.amdhsa_user_sgpr_count 6
		.amdhsa_user_sgpr_private_segment_buffer 1
		.amdhsa_user_sgpr_dispatch_ptr 0
		.amdhsa_user_sgpr_queue_ptr 0
		.amdhsa_user_sgpr_kernarg_segment_ptr 1
		.amdhsa_user_sgpr_dispatch_id 0
		.amdhsa_user_sgpr_flat_scratch_init 0
		.amdhsa_user_sgpr_kernarg_preload_length 0
		.amdhsa_user_sgpr_kernarg_preload_offset 0
		.amdhsa_user_sgpr_private_segment_size 0
		.amdhsa_uses_dynamic_stack 0
		.amdhsa_system_sgpr_private_segment_wavefront_offset 0
		.amdhsa_system_sgpr_workgroup_id_x 1
		.amdhsa_system_sgpr_workgroup_id_y 0
		.amdhsa_system_sgpr_workgroup_id_z 0
		.amdhsa_system_sgpr_workgroup_info 0
		.amdhsa_system_vgpr_workitem_id 0
		.amdhsa_next_free_vgpr 20
		.amdhsa_next_free_sgpr 22
		.amdhsa_accum_offset 20
		.amdhsa_reserve_vcc 1
		.amdhsa_reserve_flat_scratch 0
		.amdhsa_float_round_mode_32 0
		.amdhsa_float_round_mode_16_64 0
		.amdhsa_float_denorm_mode_32 3
		.amdhsa_float_denorm_mode_16_64 3
		.amdhsa_dx10_clamp 1
		.amdhsa_ieee_mode 1
		.amdhsa_fp16_overflow 0
		.amdhsa_tg_split 0
		.amdhsa_exception_fp_ieee_invalid_op 0
		.amdhsa_exception_fp_denorm_src 0
		.amdhsa_exception_fp_ieee_div_zero 0
		.amdhsa_exception_fp_ieee_overflow 0
		.amdhsa_exception_fp_ieee_underflow 0
		.amdhsa_exception_fp_ieee_inexact 0
		.amdhsa_exception_int_div_zero 0
	.end_amdhsa_kernel
	.section	.text._ZN9rocsparseL16sddmm_ell_kernelILi512ELi1EdiidddEEv20rocsparse_operation_S1_16rocsparse_order_S2_T3_S3_S3_T2_NS_24const_host_device_scalarIT1_EEPKT4_lPKT5_lS7_PT6_PKS3_21rocsparse_index_base_b,"axG",@progbits,_ZN9rocsparseL16sddmm_ell_kernelILi512ELi1EdiidddEEv20rocsparse_operation_S1_16rocsparse_order_S2_T3_S3_S3_T2_NS_24const_host_device_scalarIT1_EEPKT4_lPKT5_lS7_PT6_PKS3_21rocsparse_index_base_b,comdat
.Lfunc_end17:
	.size	_ZN9rocsparseL16sddmm_ell_kernelILi512ELi1EdiidddEEv20rocsparse_operation_S1_16rocsparse_order_S2_T3_S3_S3_T2_NS_24const_host_device_scalarIT1_EEPKT4_lPKT5_lS7_PT6_PKS3_21rocsparse_index_base_b, .Lfunc_end17-_ZN9rocsparseL16sddmm_ell_kernelILi512ELi1EdiidddEEv20rocsparse_operation_S1_16rocsparse_order_S2_T3_S3_S3_T2_NS_24const_host_device_scalarIT1_EEPKT4_lPKT5_lS7_PT6_PKS3_21rocsparse_index_base_b
                                        ; -- End function
	.section	.AMDGPU.csdata,"",@progbits
; Kernel info:
; codeLenInByte = 924
; NumSgprs: 26
; NumVgprs: 20
; NumAgprs: 0
; TotalNumVgprs: 20
; ScratchSize: 0
; MemoryBound: 0
; FloatMode: 240
; IeeeMode: 1
; LDSByteSize: 4096 bytes/workgroup (compile time only)
; SGPRBlocks: 3
; VGPRBlocks: 2
; NumSGPRsForWavesPerEU: 26
; NumVGPRsForWavesPerEU: 20
; AccumOffset: 20
; Occupancy: 8
; WaveLimiterHint : 0
; COMPUTE_PGM_RSRC2:SCRATCH_EN: 0
; COMPUTE_PGM_RSRC2:USER_SGPR: 6
; COMPUTE_PGM_RSRC2:TRAP_HANDLER: 0
; COMPUTE_PGM_RSRC2:TGID_X_EN: 1
; COMPUTE_PGM_RSRC2:TGID_Y_EN: 0
; COMPUTE_PGM_RSRC2:TGID_Z_EN: 0
; COMPUTE_PGM_RSRC2:TIDIG_COMP_CNT: 0
; COMPUTE_PGM_RSRC3_GFX90A:ACCUM_OFFSET: 4
; COMPUTE_PGM_RSRC3_GFX90A:TG_SPLIT: 0
	.section	.text._ZN9rocsparseL23sddmm_ell_sample_kernelILi16ELi32E21rocsparse_complex_numIfEiS2_EEvT2_S3_PKT3_lS3_PS4_PKS3_21rocsparse_index_base_,"axG",@progbits,_ZN9rocsparseL23sddmm_ell_sample_kernelILi16ELi32E21rocsparse_complex_numIfEiS2_EEvT2_S3_PKT3_lS3_PS4_PKS3_21rocsparse_index_base_,comdat
	.globl	_ZN9rocsparseL23sddmm_ell_sample_kernelILi16ELi32E21rocsparse_complex_numIfEiS2_EEvT2_S3_PKT3_lS3_PS4_PKS3_21rocsparse_index_base_ ; -- Begin function _ZN9rocsparseL23sddmm_ell_sample_kernelILi16ELi32E21rocsparse_complex_numIfEiS2_EEvT2_S3_PKT3_lS3_PS4_PKS3_21rocsparse_index_base_
	.p2align	8
	.type	_ZN9rocsparseL23sddmm_ell_sample_kernelILi16ELi32E21rocsparse_complex_numIfEiS2_EEvT2_S3_PKT3_lS3_PS4_PKS3_21rocsparse_index_base_,@function
_ZN9rocsparseL23sddmm_ell_sample_kernelILi16ELi32E21rocsparse_complex_numIfEiS2_EEvT2_S3_PKT3_lS3_PS4_PKS3_21rocsparse_index_base_: ; @_ZN9rocsparseL23sddmm_ell_sample_kernelILi16ELi32E21rocsparse_complex_numIfEiS2_EEvT2_S3_PKT3_lS3_PS4_PKS3_21rocsparse_index_base_
; %bb.0:
	s_load_dword s0, s[4:5], 0x18
	v_lshrrev_b32_e32 v1, 5, v0
	v_lshl_or_b32 v1, s6, 4, v1
	s_waitcnt lgkmcnt(0)
	v_cmp_gt_u32_e32 vcc, s0, v1
	s_and_saveexec_b64 s[0:1], vcc
	s_cbranch_execz .LBB18_6
; %bb.1:
	s_load_dwordx2 s[2:3], s[4:5], 0x0
	v_and_b32_e32 v4, 31, v0
	s_waitcnt lgkmcnt(0)
	v_cmp_gt_i32_e32 vcc, s2, v4
	s_and_b64 exec, exec, vcc
	s_cbranch_execz .LBB18_6
; %bb.2:
	s_load_dwordx4 s[16:19], s[4:5], 0x8
	s_load_dwordx4 s[8:11], s[4:5], 0x20
	s_load_dword s12, s[4:5], 0x30
	v_and_b32_e32 v0, 31, v0
	v_lshlrev_b32_e32 v0, 3, v0
	s_waitcnt lgkmcnt(0)
	v_mov_b32_e32 v3, s17
	v_add_co_u32_e32 v2, vcc, s16, v0
	v_mul_lo_u32 v5, v1, s2
	s_lshl_b64 s[4:5], s[18:19], 3
	v_mov_b32_e32 v1, 0
	v_addc_co_u32_e32 v3, vcc, 0, v3, vcc
	s_mov_b64 s[6:7], 0
	v_mov_b32_e32 v6, s11
	s_branch .LBB18_4
.LBB18_3:                               ;   in Loop: Header=BB18_4 Depth=1
	s_or_b64 exec, exec, s[0:1]
	v_add_u32_e32 v4, 32, v4
	v_add_co_u32_e32 v2, vcc, 0x100, v2
	v_cmp_le_i32_e64 s[0:1], s2, v4
	s_or_b64 s[6:7], s[0:1], s[6:7]
	v_addc_co_u32_e32 v3, vcc, 0, v3, vcc
	s_andn2_b64 exec, exec, s[6:7]
	s_cbranch_execz .LBB18_6
.LBB18_4:                               ; =>This Inner Loop Header: Depth=1
	v_add_u32_e32 v0, v5, v4
	v_lshlrev_b64 v[8:9], 2, v[0:1]
	v_add_co_u32_e32 v8, vcc, s10, v8
	v_addc_co_u32_e32 v9, vcc, v6, v9, vcc
	global_load_dword v7, v[8:9], off
	s_waitcnt vmcnt(0)
	v_subrev_u32_e32 v7, s12, v7
	v_cmp_lt_i32_e32 vcc, -1, v7
	v_cmp_gt_i32_e64 s[0:1], s3, v7
	s_and_b64 s[14:15], vcc, s[0:1]
	s_and_saveexec_b64 s[0:1], s[14:15]
	s_cbranch_execz .LBB18_3
; %bb.5:                                ;   in Loop: Header=BB18_4 Depth=1
	v_mad_u64_u32 v[8:9], s[14:15], s4, v7, v[2:3]
	v_mov_b32_e32 v10, v9
	v_mad_u64_u32 v[10:11], s[14:15], s5, v7, v[10:11]
	v_mov_b32_e32 v9, v10
	global_load_dwordx2 v[8:9], v[8:9], off
	v_lshlrev_b64 v[10:11], 3, v[0:1]
	v_mov_b32_e32 v0, s9
	v_add_co_u32_e32 v10, vcc, s8, v10
	v_addc_co_u32_e32 v11, vcc, v0, v11, vcc
	s_waitcnt vmcnt(0)
	global_store_dwordx2 v[10:11], v[8:9], off
	s_branch .LBB18_3
.LBB18_6:
	s_endpgm
	.section	.rodata,"a",@progbits
	.p2align	6, 0x0
	.amdhsa_kernel _ZN9rocsparseL23sddmm_ell_sample_kernelILi16ELi32E21rocsparse_complex_numIfEiS2_EEvT2_S3_PKT3_lS3_PS4_PKS3_21rocsparse_index_base_
		.amdhsa_group_segment_fixed_size 0
		.amdhsa_private_segment_fixed_size 0
		.amdhsa_kernarg_size 52
		.amdhsa_user_sgpr_count 6
		.amdhsa_user_sgpr_private_segment_buffer 1
		.amdhsa_user_sgpr_dispatch_ptr 0
		.amdhsa_user_sgpr_queue_ptr 0
		.amdhsa_user_sgpr_kernarg_segment_ptr 1
		.amdhsa_user_sgpr_dispatch_id 0
		.amdhsa_user_sgpr_flat_scratch_init 0
		.amdhsa_user_sgpr_kernarg_preload_length 0
		.amdhsa_user_sgpr_kernarg_preload_offset 0
		.amdhsa_user_sgpr_private_segment_size 0
		.amdhsa_uses_dynamic_stack 0
		.amdhsa_system_sgpr_private_segment_wavefront_offset 0
		.amdhsa_system_sgpr_workgroup_id_x 1
		.amdhsa_system_sgpr_workgroup_id_y 0
		.amdhsa_system_sgpr_workgroup_id_z 0
		.amdhsa_system_sgpr_workgroup_info 0
		.amdhsa_system_vgpr_workitem_id 0
		.amdhsa_next_free_vgpr 12
		.amdhsa_next_free_sgpr 20
		.amdhsa_accum_offset 12
		.amdhsa_reserve_vcc 1
		.amdhsa_reserve_flat_scratch 0
		.amdhsa_float_round_mode_32 0
		.amdhsa_float_round_mode_16_64 0
		.amdhsa_float_denorm_mode_32 3
		.amdhsa_float_denorm_mode_16_64 3
		.amdhsa_dx10_clamp 1
		.amdhsa_ieee_mode 1
		.amdhsa_fp16_overflow 0
		.amdhsa_tg_split 0
		.amdhsa_exception_fp_ieee_invalid_op 0
		.amdhsa_exception_fp_denorm_src 0
		.amdhsa_exception_fp_ieee_div_zero 0
		.amdhsa_exception_fp_ieee_overflow 0
		.amdhsa_exception_fp_ieee_underflow 0
		.amdhsa_exception_fp_ieee_inexact 0
		.amdhsa_exception_int_div_zero 0
	.end_amdhsa_kernel
	.section	.text._ZN9rocsparseL23sddmm_ell_sample_kernelILi16ELi32E21rocsparse_complex_numIfEiS2_EEvT2_S3_PKT3_lS3_PS4_PKS3_21rocsparse_index_base_,"axG",@progbits,_ZN9rocsparseL23sddmm_ell_sample_kernelILi16ELi32E21rocsparse_complex_numIfEiS2_EEvT2_S3_PKT3_lS3_PS4_PKS3_21rocsparse_index_base_,comdat
.Lfunc_end18:
	.size	_ZN9rocsparseL23sddmm_ell_sample_kernelILi16ELi32E21rocsparse_complex_numIfEiS2_EEvT2_S3_PKT3_lS3_PS4_PKS3_21rocsparse_index_base_, .Lfunc_end18-_ZN9rocsparseL23sddmm_ell_sample_kernelILi16ELi32E21rocsparse_complex_numIfEiS2_EEvT2_S3_PKT3_lS3_PS4_PKS3_21rocsparse_index_base_
                                        ; -- End function
	.section	.AMDGPU.csdata,"",@progbits
; Kernel info:
; codeLenInByte = 312
; NumSgprs: 24
; NumVgprs: 12
; NumAgprs: 0
; TotalNumVgprs: 12
; ScratchSize: 0
; MemoryBound: 0
; FloatMode: 240
; IeeeMode: 1
; LDSByteSize: 0 bytes/workgroup (compile time only)
; SGPRBlocks: 2
; VGPRBlocks: 1
; NumSGPRsForWavesPerEU: 24
; NumVGPRsForWavesPerEU: 12
; AccumOffset: 12
; Occupancy: 8
; WaveLimiterHint : 1
; COMPUTE_PGM_RSRC2:SCRATCH_EN: 0
; COMPUTE_PGM_RSRC2:USER_SGPR: 6
; COMPUTE_PGM_RSRC2:TRAP_HANDLER: 0
; COMPUTE_PGM_RSRC2:TGID_X_EN: 1
; COMPUTE_PGM_RSRC2:TGID_Y_EN: 0
; COMPUTE_PGM_RSRC2:TGID_Z_EN: 0
; COMPUTE_PGM_RSRC2:TIDIG_COMP_CNT: 0
; COMPUTE_PGM_RSRC3_GFX90A:ACCUM_OFFSET: 2
; COMPUTE_PGM_RSRC3_GFX90A:TG_SPLIT: 0
	.section	.text._ZN9rocsparseL23sddmm_ell_sample_kernelILi16ELi64E21rocsparse_complex_numIfEiS2_EEvT2_S3_PKT3_lS3_PS4_PKS3_21rocsparse_index_base_,"axG",@progbits,_ZN9rocsparseL23sddmm_ell_sample_kernelILi16ELi64E21rocsparse_complex_numIfEiS2_EEvT2_S3_PKT3_lS3_PS4_PKS3_21rocsparse_index_base_,comdat
	.globl	_ZN9rocsparseL23sddmm_ell_sample_kernelILi16ELi64E21rocsparse_complex_numIfEiS2_EEvT2_S3_PKT3_lS3_PS4_PKS3_21rocsparse_index_base_ ; -- Begin function _ZN9rocsparseL23sddmm_ell_sample_kernelILi16ELi64E21rocsparse_complex_numIfEiS2_EEvT2_S3_PKT3_lS3_PS4_PKS3_21rocsparse_index_base_
	.p2align	8
	.type	_ZN9rocsparseL23sddmm_ell_sample_kernelILi16ELi64E21rocsparse_complex_numIfEiS2_EEvT2_S3_PKT3_lS3_PS4_PKS3_21rocsparse_index_base_,@function
_ZN9rocsparseL23sddmm_ell_sample_kernelILi16ELi64E21rocsparse_complex_numIfEiS2_EEvT2_S3_PKT3_lS3_PS4_PKS3_21rocsparse_index_base_: ; @_ZN9rocsparseL23sddmm_ell_sample_kernelILi16ELi64E21rocsparse_complex_numIfEiS2_EEvT2_S3_PKT3_lS3_PS4_PKS3_21rocsparse_index_base_
; %bb.0:
	s_load_dword s0, s[4:5], 0x18
	v_lshrrev_b32_e32 v1, 6, v0
	v_lshl_or_b32 v1, s6, 4, v1
	s_waitcnt lgkmcnt(0)
	v_cmp_gt_u32_e32 vcc, s0, v1
	s_and_saveexec_b64 s[0:1], vcc
	s_cbranch_execz .LBB19_6
; %bb.1:
	s_load_dwordx2 s[2:3], s[4:5], 0x0
	v_and_b32_e32 v4, 63, v0
	s_waitcnt lgkmcnt(0)
	v_cmp_gt_i32_e32 vcc, s2, v4
	s_and_b64 exec, exec, vcc
	s_cbranch_execz .LBB19_6
; %bb.2:
	s_load_dwordx4 s[16:19], s[4:5], 0x8
	s_load_dwordx4 s[8:11], s[4:5], 0x20
	s_load_dword s12, s[4:5], 0x30
	v_and_b32_e32 v0, 63, v0
	v_lshlrev_b32_e32 v0, 3, v0
	s_waitcnt lgkmcnt(0)
	v_mov_b32_e32 v3, s17
	v_add_co_u32_e32 v2, vcc, s16, v0
	v_mul_lo_u32 v5, v1, s2
	s_lshl_b64 s[4:5], s[18:19], 3
	v_mov_b32_e32 v1, 0
	v_addc_co_u32_e32 v3, vcc, 0, v3, vcc
	s_mov_b64 s[6:7], 0
	v_mov_b32_e32 v6, s11
	s_branch .LBB19_4
.LBB19_3:                               ;   in Loop: Header=BB19_4 Depth=1
	s_or_b64 exec, exec, s[0:1]
	v_add_u32_e32 v4, 64, v4
	v_add_co_u32_e32 v2, vcc, 0x200, v2
	v_cmp_le_i32_e64 s[0:1], s2, v4
	s_or_b64 s[6:7], s[0:1], s[6:7]
	v_addc_co_u32_e32 v3, vcc, 0, v3, vcc
	s_andn2_b64 exec, exec, s[6:7]
	s_cbranch_execz .LBB19_6
.LBB19_4:                               ; =>This Inner Loop Header: Depth=1
	v_add_u32_e32 v0, v5, v4
	v_lshlrev_b64 v[8:9], 2, v[0:1]
	v_add_co_u32_e32 v8, vcc, s10, v8
	v_addc_co_u32_e32 v9, vcc, v6, v9, vcc
	global_load_dword v7, v[8:9], off
	s_waitcnt vmcnt(0)
	v_subrev_u32_e32 v7, s12, v7
	v_cmp_lt_i32_e32 vcc, -1, v7
	v_cmp_gt_i32_e64 s[0:1], s3, v7
	s_and_b64 s[14:15], vcc, s[0:1]
	s_and_saveexec_b64 s[0:1], s[14:15]
	s_cbranch_execz .LBB19_3
; %bb.5:                                ;   in Loop: Header=BB19_4 Depth=1
	v_mad_u64_u32 v[8:9], s[14:15], s4, v7, v[2:3]
	v_mov_b32_e32 v10, v9
	v_mad_u64_u32 v[10:11], s[14:15], s5, v7, v[10:11]
	v_mov_b32_e32 v9, v10
	global_load_dwordx2 v[8:9], v[8:9], off
	v_lshlrev_b64 v[10:11], 3, v[0:1]
	v_mov_b32_e32 v0, s9
	v_add_co_u32_e32 v10, vcc, s8, v10
	v_addc_co_u32_e32 v11, vcc, v0, v11, vcc
	s_waitcnt vmcnt(0)
	global_store_dwordx2 v[10:11], v[8:9], off
	s_branch .LBB19_3
.LBB19_6:
	s_endpgm
	.section	.rodata,"a",@progbits
	.p2align	6, 0x0
	.amdhsa_kernel _ZN9rocsparseL23sddmm_ell_sample_kernelILi16ELi64E21rocsparse_complex_numIfEiS2_EEvT2_S3_PKT3_lS3_PS4_PKS3_21rocsparse_index_base_
		.amdhsa_group_segment_fixed_size 0
		.amdhsa_private_segment_fixed_size 0
		.amdhsa_kernarg_size 52
		.amdhsa_user_sgpr_count 6
		.amdhsa_user_sgpr_private_segment_buffer 1
		.amdhsa_user_sgpr_dispatch_ptr 0
		.amdhsa_user_sgpr_queue_ptr 0
		.amdhsa_user_sgpr_kernarg_segment_ptr 1
		.amdhsa_user_sgpr_dispatch_id 0
		.amdhsa_user_sgpr_flat_scratch_init 0
		.amdhsa_user_sgpr_kernarg_preload_length 0
		.amdhsa_user_sgpr_kernarg_preload_offset 0
		.amdhsa_user_sgpr_private_segment_size 0
		.amdhsa_uses_dynamic_stack 0
		.amdhsa_system_sgpr_private_segment_wavefront_offset 0
		.amdhsa_system_sgpr_workgroup_id_x 1
		.amdhsa_system_sgpr_workgroup_id_y 0
		.amdhsa_system_sgpr_workgroup_id_z 0
		.amdhsa_system_sgpr_workgroup_info 0
		.amdhsa_system_vgpr_workitem_id 0
		.amdhsa_next_free_vgpr 12
		.amdhsa_next_free_sgpr 20
		.amdhsa_accum_offset 12
		.amdhsa_reserve_vcc 1
		.amdhsa_reserve_flat_scratch 0
		.amdhsa_float_round_mode_32 0
		.amdhsa_float_round_mode_16_64 0
		.amdhsa_float_denorm_mode_32 3
		.amdhsa_float_denorm_mode_16_64 3
		.amdhsa_dx10_clamp 1
		.amdhsa_ieee_mode 1
		.amdhsa_fp16_overflow 0
		.amdhsa_tg_split 0
		.amdhsa_exception_fp_ieee_invalid_op 0
		.amdhsa_exception_fp_denorm_src 0
		.amdhsa_exception_fp_ieee_div_zero 0
		.amdhsa_exception_fp_ieee_overflow 0
		.amdhsa_exception_fp_ieee_underflow 0
		.amdhsa_exception_fp_ieee_inexact 0
		.amdhsa_exception_int_div_zero 0
	.end_amdhsa_kernel
	.section	.text._ZN9rocsparseL23sddmm_ell_sample_kernelILi16ELi64E21rocsparse_complex_numIfEiS2_EEvT2_S3_PKT3_lS3_PS4_PKS3_21rocsparse_index_base_,"axG",@progbits,_ZN9rocsparseL23sddmm_ell_sample_kernelILi16ELi64E21rocsparse_complex_numIfEiS2_EEvT2_S3_PKT3_lS3_PS4_PKS3_21rocsparse_index_base_,comdat
.Lfunc_end19:
	.size	_ZN9rocsparseL23sddmm_ell_sample_kernelILi16ELi64E21rocsparse_complex_numIfEiS2_EEvT2_S3_PKT3_lS3_PS4_PKS3_21rocsparse_index_base_, .Lfunc_end19-_ZN9rocsparseL23sddmm_ell_sample_kernelILi16ELi64E21rocsparse_complex_numIfEiS2_EEvT2_S3_PKT3_lS3_PS4_PKS3_21rocsparse_index_base_
                                        ; -- End function
	.section	.AMDGPU.csdata,"",@progbits
; Kernel info:
; codeLenInByte = 312
; NumSgprs: 24
; NumVgprs: 12
; NumAgprs: 0
; TotalNumVgprs: 12
; ScratchSize: 0
; MemoryBound: 0
; FloatMode: 240
; IeeeMode: 1
; LDSByteSize: 0 bytes/workgroup (compile time only)
; SGPRBlocks: 2
; VGPRBlocks: 1
; NumSGPRsForWavesPerEU: 24
; NumVGPRsForWavesPerEU: 12
; AccumOffset: 12
; Occupancy: 8
; WaveLimiterHint : 1
; COMPUTE_PGM_RSRC2:SCRATCH_EN: 0
; COMPUTE_PGM_RSRC2:USER_SGPR: 6
; COMPUTE_PGM_RSRC2:TRAP_HANDLER: 0
; COMPUTE_PGM_RSRC2:TGID_X_EN: 1
; COMPUTE_PGM_RSRC2:TGID_Y_EN: 0
; COMPUTE_PGM_RSRC2:TGID_Z_EN: 0
; COMPUTE_PGM_RSRC2:TIDIG_COMP_CNT: 0
; COMPUTE_PGM_RSRC3_GFX90A:ACCUM_OFFSET: 2
; COMPUTE_PGM_RSRC3_GFX90A:TG_SPLIT: 0
	.section	.text._ZN9rocsparseL16sddmm_ell_kernelILi512ELi8E21rocsparse_complex_numIfEiiS2_S2_S2_EEv20rocsparse_operation_S3_16rocsparse_order_S4_T3_S5_S5_T2_NS_24const_host_device_scalarIT1_EEPKT4_lPKT5_lS9_PT6_PKS5_21rocsparse_index_base_b,"axG",@progbits,_ZN9rocsparseL16sddmm_ell_kernelILi512ELi8E21rocsparse_complex_numIfEiiS2_S2_S2_EEv20rocsparse_operation_S3_16rocsparse_order_S4_T3_S5_S5_T2_NS_24const_host_device_scalarIT1_EEPKT4_lPKT5_lS9_PT6_PKS5_21rocsparse_index_base_b,comdat
	.globl	_ZN9rocsparseL16sddmm_ell_kernelILi512ELi8E21rocsparse_complex_numIfEiiS2_S2_S2_EEv20rocsparse_operation_S3_16rocsparse_order_S4_T3_S5_S5_T2_NS_24const_host_device_scalarIT1_EEPKT4_lPKT5_lS9_PT6_PKS5_21rocsparse_index_base_b ; -- Begin function _ZN9rocsparseL16sddmm_ell_kernelILi512ELi8E21rocsparse_complex_numIfEiiS2_S2_S2_EEv20rocsparse_operation_S3_16rocsparse_order_S4_T3_S5_S5_T2_NS_24const_host_device_scalarIT1_EEPKT4_lPKT5_lS9_PT6_PKS5_21rocsparse_index_base_b
	.p2align	8
	.type	_ZN9rocsparseL16sddmm_ell_kernelILi512ELi8E21rocsparse_complex_numIfEiiS2_S2_S2_EEv20rocsparse_operation_S3_16rocsparse_order_S4_T3_S5_S5_T2_NS_24const_host_device_scalarIT1_EEPKT4_lPKT5_lS9_PT6_PKS5_21rocsparse_index_base_b,@function
_ZN9rocsparseL16sddmm_ell_kernelILi512ELi8E21rocsparse_complex_numIfEiiS2_S2_S2_EEv20rocsparse_operation_S3_16rocsparse_order_S4_T3_S5_S5_T2_NS_24const_host_device_scalarIT1_EEPKT4_lPKT5_lS9_PT6_PKS5_21rocsparse_index_base_b: ; @_ZN9rocsparseL16sddmm_ell_kernelILi512ELi8E21rocsparse_complex_numIfEiiS2_S2_S2_EEv20rocsparse_operation_S3_16rocsparse_order_S4_T3_S5_S5_T2_NS_24const_host_device_scalarIT1_EEPKT4_lPKT5_lS9_PT6_PKS5_21rocsparse_index_base_b
; %bb.0:
	s_load_dwordx2 s[2:3], s[4:5], 0x60
	s_load_dwordx2 s[12:13], s[4:5], 0x20
	s_waitcnt lgkmcnt(0)
	s_bitcmp1_b32 s3, 0
	s_cselect_b64 s[0:1], -1, 0
	s_xor_b64 s[14:15], s[0:1], -1
	s_and_b64 vcc, exec, s[0:1]
	v_mov_b32_e32 v1, s12
	s_cbranch_vccnz .LBB20_2
; %bb.1:
	v_pk_mov_b32 v[2:3], s[12:13], s[12:13] op_sel:[0,1]
	flat_load_dword v1, v[2:3]
.LBB20_2:
	s_load_dwordx4 s[8:11], s[4:5], 0x40
	v_cndmask_b32_e64 v2, 0, 1, s[14:15]
	v_cmp_ne_u32_e64 s[0:1], 1, v2
	s_andn2_b64 vcc, exec, s[14:15]
	v_mov_b32_e32 v3, s13
	s_cbranch_vccz .LBB20_15
; %bb.3:
	s_and_b64 vcc, exec, s[0:1]
	s_waitcnt lgkmcnt(0)
	v_mov_b32_e32 v4, s10
	s_cbranch_vccz .LBB20_16
.LBB20_4:
	s_and_b64 vcc, exec, s[0:1]
	v_mov_b32_e32 v6, s11
	s_cbranch_vccnz .LBB20_6
.LBB20_5:
	v_pk_mov_b32 v[6:7], s[10:11], s[10:11] op_sel:[0,1]
	flat_load_dword v6, v[6:7] offset:4
.LBB20_6:
	s_waitcnt vmcnt(0)
	v_or_b32_e32 v2, v1, v3
	v_and_b32_e32 v2, 0x7fffffff, v2
	v_cmp_eq_u32_e32 vcc, 0, v2
	s_mov_b64 s[0:1], -1
	s_and_saveexec_b64 s[10:11], vcc
	s_cbranch_execz .LBB20_8
; %bb.7:
	s_waitcnt lgkmcnt(0)
	v_cmp_neq_f32_e32 vcc, 1.0, v4
	v_cmp_neq_f32_e64 s[0:1], 0, v6
	s_or_b64 s[0:1], vcc, s[0:1]
	s_orn2_b64 s[0:1], s[0:1], exec
.LBB20_8:
	s_or_b64 exec, exec, s[10:11]
	s_and_saveexec_b64 s[10:11], s[0:1]
	s_cbranch_execz .LBB20_41
; %bb.9:
	s_load_dwordx2 s[10:11], s[4:5], 0x18
	v_lshrrev_b32_e32 v2, 3, v0
	v_lshl_or_b32 v8, s6, 6, v2
	s_waitcnt lgkmcnt(0)
	v_cmp_gt_i32_e32 vcc, s11, v8
	s_and_b64 exec, exec, vcc
	s_cbranch_execz .LBB20_41
; %bb.10:
	s_load_dwordx2 s[0:1], s[4:5], 0x58
	v_ashrrev_i32_e32 v9, 31, v8
	v_lshlrev_b64 v[10:11], 2, v[8:9]
	s_waitcnt lgkmcnt(0)
	v_mov_b32_e32 v5, s1
	v_add_co_u32_e32 v10, vcc, s0, v10
	v_addc_co_u32_e32 v11, vcc, v5, v11, vcc
	global_load_dword v5, v[10:11], off
	s_waitcnt vmcnt(0)
	v_subrev_u32_e32 v10, s2, v5
	v_cmp_lt_i32_e32 vcc, -1, v10
	s_and_b64 exec, exec, vcc
	s_cbranch_execz .LBB20_41
; %bb.11:
	s_load_dwordx4 s[0:3], s[4:5], 0x0
	s_load_dword s11, s[4:5], 0x10
	v_sub_u32_e32 v7, 0, v8
	v_max_i32_e32 v7, v8, v7
	s_load_dwordx2 s[14:15], s[4:5], 0x30
	s_waitcnt lgkmcnt(0)
	s_cmp_eq_u32 s2, 1
	s_cselect_b64 s[6:7], -1, 0
	s_cmpk_eq_i32 s0, 0x6f
	s_cselect_b64 s[12:13], -1, 0
	s_cmpk_lg_i32 s0, 0x6f
	s_cselect_b64 s[16:17], -1, 0
	s_abs_i32 s0, s11
	v_cvt_f32_u32_e32 v5, s0
	s_sub_i32 s11, 0, s0
	s_cmp_lg_u32 s2, 1
	v_rcp_iflag_f32_e32 v5, v5
	v_mul_f32_e32 v5, 0x4f7ffffe, v5
	v_cvt_u32_f32_e32 v5, v5
	v_mul_lo_u32 v11, s11, v5
	v_mul_hi_u32 v11, v5, v11
	v_add_u32_e32 v5, v5, v11
	v_mul_hi_u32 v5, v7, v5
	v_mul_lo_u32 v5, v5, s0
	v_sub_u32_e32 v5, v7, v5
	v_subrev_u32_e32 v7, s0, v5
	v_cmp_le_u32_e32 vcc, s0, v5
	v_cndmask_b32_e32 v5, v5, v7, vcc
	v_subrev_u32_e32 v7, s0, v5
	v_cmp_le_u32_e32 vcc, s0, v5
	v_cndmask_b32_e32 v5, v5, v7, vcc
	v_xor_b32_e32 v5, v5, v9
	v_sub_u32_e32 v14, v5, v9
	v_ashrrev_i32_e32 v15, 31, v14
	s_cbranch_scc0 .LBB20_17
; %bb.12:
	s_andn2_b64 vcc, exec, s[12:13]
	v_pk_mov_b32 v[12:13], v[14:15], v[14:15] op_sel:[0,1]
	s_cbranch_vccnz .LBB20_14
; %bb.13:
	v_mul_lo_u32 v5, v15, s14
	v_mul_lo_u32 v7, v14, s15
	v_mad_u64_u32 v[12:13], s[18:19], v14, s14, 0
	v_add3_u32 v13, v13, v7, v5
.LBB20_14:
	s_cbranch_execz .LBB20_18
	s_branch .LBB20_21
.LBB20_15:
	v_pk_mov_b32 v[2:3], s[12:13], s[12:13] op_sel:[0,1]
	flat_load_dword v3, v[2:3] offset:4
	s_and_b64 vcc, exec, s[0:1]
	s_waitcnt lgkmcnt(0)
	v_mov_b32_e32 v4, s10
	s_cbranch_vccnz .LBB20_4
.LBB20_16:
	v_pk_mov_b32 v[4:5], s[10:11], s[10:11] op_sel:[0,1]
	flat_load_dword v4, v[4:5]
	s_and_b64 vcc, exec, s[0:1]
	v_mov_b32_e32 v6, s11
	s_cbranch_vccz .LBB20_5
	s_branch .LBB20_6
.LBB20_17:
                                        ; implicit-def: $vgpr12_vgpr13
.LBB20_18:
	s_andn2_b64 vcc, exec, s[16:17]
	s_cbranch_vccnz .LBB20_20
; %bb.19:
	v_mul_lo_u32 v5, v15, s14
	v_mul_lo_u32 v7, v14, s15
	v_mad_u64_u32 v[14:15], s[16:17], v14, s14, 0
	v_add3_u32 v15, v15, v7, v5
.LBB20_20:
	v_pk_mov_b32 v[12:13], v[14:15], v[14:15] op_sel:[0,1]
.LBB20_21:
	s_cmp_eq_u32 s3, 1
	s_cselect_b64 s[16:17], -1, 0
	s_cmpk_eq_i32 s1, 0x6f
	s_cselect_b64 s[18:19], -1, 0
	s_cmpk_lg_i32 s1, 0x6f
	s_cselect_b64 s[0:1], -1, 0
	s_cmp_lg_u32 s3, 1
	v_mov_b32_e32 v11, 0
	s_cbranch_scc0 .LBB20_25
; %bb.22:
	s_andn2_b64 vcc, exec, s[0:1]
	v_pk_mov_b32 v[14:15], v[10:11], v[10:11] op_sel:[0,1]
	s_cbranch_vccnz .LBB20_24
; %bb.23:
	v_mad_u64_u32 v[14:15], s[0:1], v10, s8, 0
	v_mov_b32_e32 v16, v15
	v_mad_u64_u32 v[16:17], s[0:1], v10, s9, v[16:17]
	v_mov_b32_e32 v15, v16
.LBB20_24:
	s_cbranch_execz .LBB20_26
	s_branch .LBB20_29
.LBB20_25:
                                        ; implicit-def: $vgpr14_vgpr15
.LBB20_26:
	s_andn2_b64 vcc, exec, s[18:19]
	s_cbranch_vccnz .LBB20_28
; %bb.27:
	v_mad_u64_u32 v[14:15], s[0:1], v10, s8, 0
	v_mov_b32_e32 v16, v15
	v_mad_u64_u32 v[10:11], s[0:1], v10, s9, v[16:17]
	v_mov_b32_e32 v15, v10
	v_pk_mov_b32 v[10:11], v[14:15], v[14:15] op_sel:[0,1]
.LBB20_28:
	v_pk_mov_b32 v[14:15], v[10:11], v[10:11] op_sel:[0,1]
.LBB20_29:
	s_load_dwordx2 s[0:1], s[4:5], 0x50
	v_and_b32_e32 v5, 7, v0
	v_mov_b32_e32 v11, 0
	v_cmp_gt_i32_e32 vcc, s10, v5
	v_mov_b32_e32 v10, v11
	s_and_saveexec_b64 s[2:3], vcc
	s_cbranch_execz .LBB20_33
; %bb.30:
	s_load_dwordx2 s[20:21], s[4:5], 0x28
	s_load_dwordx2 s[22:23], s[4:5], 0x38
	s_xor_b64 s[4:5], s[12:13], s[6:7]
	s_and_b64 s[4:5], s[4:5], exec
	s_cselect_b32 s5, 0, s15
	s_cselect_b32 s4, 1, s14
	s_xor_b64 s[6:7], s[18:19], s[16:17]
	s_and_b64 s[6:7], s[6:7], exec
	v_and_b32_e32 v7, 7, v0
	s_cselect_b32 s7, s9, 0
	s_cselect_b32 s6, s8, 1
	v_mad_u64_u32 v[10:11], s[8:9], s4, v7, 0
	v_mov_b32_e32 v0, v11
	v_mad_u64_u32 v[16:17], s[8:9], s5, v7, v[0:1]
	v_mov_b32_e32 v11, v16
	v_lshlrev_b64 v[10:11], 3, v[10:11]
	v_lshlrev_b64 v[12:13], 3, v[12:13]
	v_add_co_u32_e32 v0, vcc, v10, v12
	v_addc_co_u32_e32 v10, vcc, v11, v13, vcc
	s_waitcnt lgkmcnt(0)
	v_mov_b32_e32 v11, s21
	v_add_co_u32_e32 v12, vcc, s20, v0
	v_addc_co_u32_e32 v13, vcc, v11, v10, vcc
	v_mad_u64_u32 v[10:11], s[8:9], s6, v7, 0
	v_mov_b32_e32 v0, v11
	v_mad_u64_u32 v[16:17], s[8:9], s7, v7, v[0:1]
	v_mov_b32_e32 v11, v16
	v_lshlrev_b64 v[10:11], 3, v[10:11]
	v_lshlrev_b64 v[14:15], 3, v[14:15]
	v_add_co_u32_e32 v0, vcc, v10, v14
	v_addc_co_u32_e32 v7, vcc, v11, v15, vcc
	v_mov_b32_e32 v10, s23
	v_add_co_u32_e32 v0, vcc, s22, v0
	v_addc_co_u32_e32 v7, vcc, v7, v10, vcc
	s_lshl_b64 s[4:5], s[4:5], 6
	v_add_co_u32_e32 v14, vcc, 4, v0
	s_lshl_b64 s[8:9], s[6:7], 6
	v_mov_b32_e32 v10, 0
	v_addc_co_u32_e32 v15, vcc, 0, v7, vcc
	s_mov_b64 s[6:7], 0
	v_mov_b32_e32 v0, s5
	v_mov_b32_e32 v7, s9
	;; [unrolled: 1-line block ×4, first 2 shown]
.LBB20_31:                              ; =>This Inner Loop Header: Depth=1
	global_load_dwordx2 v[18:19], v[12:13], off
	global_load_dwordx2 v[20:21], v[14:15], off offset:-4
	v_add_co_u32_e32 v12, vcc, s4, v12
	v_addc_co_u32_e32 v13, vcc, v13, v0, vcc
	v_add_co_u32_e32 v14, vcc, s8, v14
	v_add_u32_e32 v16, 8, v16
	v_addc_co_u32_e32 v15, vcc, v15, v7, vcc
	v_cmp_le_i32_e32 vcc, s10, v16
	s_or_b64 s[6:7], vcc, s[6:7]
	s_waitcnt vmcnt(0)
	v_pk_mul_f32 v[22:23], v[20:21], v[18:19] op_sel:[1,1] op_sel_hi:[1,0] neg_lo:[0,1]
	v_pk_fma_f32 v[18:19], v[18:19], v[20:21], v[22:23] op_sel_hi:[1,0,1]
	v_pk_add_f32 v[10:11], v[10:11], v[18:19]
	s_andn2_b64 exec, exec, s[6:7]
	s_cbranch_execnz .LBB20_31
; %bb.32:
	s_or_b64 exec, exec, s[6:7]
.LBB20_33:
	s_or_b64 exec, exec, s[2:3]
	v_lshlrev_b32_e32 v0, 3, v5
	v_lshl_or_b32 v0, v2, 6, v0
	v_cmp_gt_u32_e32 vcc, 4, v5
	ds_write_b64 v0, v[10:11]
	s_waitcnt lgkmcnt(0)
	s_barrier
	s_and_saveexec_b64 s[2:3], vcc
	s_cbranch_execz .LBB20_35
; %bb.34:
	ds_read2_b64 v[10:13], v0 offset1:4
	s_waitcnt lgkmcnt(0)
	v_pk_add_f32 v[10:11], v[12:13], v[10:11]
	ds_write_b64 v0, v[10:11]
.LBB20_35:
	s_or_b64 exec, exec, s[2:3]
	v_cmp_gt_u32_e32 vcc, 2, v5
	s_waitcnt lgkmcnt(0)
	s_barrier
	s_and_saveexec_b64 s[2:3], vcc
	s_cbranch_execz .LBB20_37
; %bb.36:
	ds_read2_b64 v[10:13], v0 offset1:2
	s_waitcnt lgkmcnt(0)
	v_pk_add_f32 v[10:11], v[12:13], v[10:11]
	ds_write_b64 v0, v[10:11]
.LBB20_37:
	s_or_b64 exec, exec, s[2:3]
	v_cmp_eq_u32_e32 vcc, 0, v5
	v_lshlrev_b32_e32 v2, 6, v2
	s_waitcnt lgkmcnt(0)
	s_barrier
	s_and_saveexec_b64 s[2:3], vcc
	s_cbranch_execz .LBB20_39
; %bb.38:
	ds_read_b64 v[10:11], v2 offset:8
	ds_read_b64 v[12:13], v0
	s_waitcnt lgkmcnt(0)
	v_pk_add_f32 v[10:11], v[10:11], v[12:13]
	ds_write_b64 v0, v[10:11]
.LBB20_39:
	s_or_b64 exec, exec, s[2:3]
	s_waitcnt lgkmcnt(0)
	s_barrier
	s_and_b64 exec, exec, vcc
	s_cbranch_execz .LBB20_41
; %bb.40:
	v_lshlrev_b64 v[8:9], 3, v[8:9]
	v_mov_b32_e32 v0, s1
	v_add_co_u32_e32 v8, vcc, s0, v8
	v_addc_co_u32_e32 v9, vcc, v0, v9, vcc
	global_load_dwordx2 v[10:11], v[8:9], off
	ds_read_b64 v[12:13], v2
	v_xor_b32_e32 v15, 0x80000000, v3
	s_waitcnt lgkmcnt(0)
	v_mov_b32_e32 v7, v13
	v_mov_b32_e32 v5, v12
	s_waitcnt vmcnt(0)
	v_mov_b32_e32 v14, v10
	v_mov_b32_e32 v0, v11
	v_pk_mul_f32 v[12:13], v[6:7], v[14:15]
	v_pk_fma_f32 v[12:13], v[0:1], v[4:5], v[12:13]
	v_xor_b32_e32 v0, 0x80000000, v11
	v_mov_b32_e32 v2, v10
	v_pk_mul_f32 v[0:1], v[6:7], v[0:1]
	v_pk_fma_f32 v[0:1], v[2:3], v[4:5], v[0:1]
	v_pk_add_f32 v[0:1], v[12:13], v[0:1] op_sel:[0,1] op_sel_hi:[1,0]
	v_mov_b32_e32 v2, v1
	v_mov_b32_e32 v3, v0
	global_store_dwordx2 v[8:9], v[2:3], off
.LBB20_41:
	s_endpgm
	.section	.rodata,"a",@progbits
	.p2align	6, 0x0
	.amdhsa_kernel _ZN9rocsparseL16sddmm_ell_kernelILi512ELi8E21rocsparse_complex_numIfEiiS2_S2_S2_EEv20rocsparse_operation_S3_16rocsparse_order_S4_T3_S5_S5_T2_NS_24const_host_device_scalarIT1_EEPKT4_lPKT5_lS9_PT6_PKS5_21rocsparse_index_base_b
		.amdhsa_group_segment_fixed_size 4096
		.amdhsa_private_segment_fixed_size 0
		.amdhsa_kernarg_size 104
		.amdhsa_user_sgpr_count 6
		.amdhsa_user_sgpr_private_segment_buffer 1
		.amdhsa_user_sgpr_dispatch_ptr 0
		.amdhsa_user_sgpr_queue_ptr 0
		.amdhsa_user_sgpr_kernarg_segment_ptr 1
		.amdhsa_user_sgpr_dispatch_id 0
		.amdhsa_user_sgpr_flat_scratch_init 0
		.amdhsa_user_sgpr_kernarg_preload_length 0
		.amdhsa_user_sgpr_kernarg_preload_offset 0
		.amdhsa_user_sgpr_private_segment_size 0
		.amdhsa_uses_dynamic_stack 0
		.amdhsa_system_sgpr_private_segment_wavefront_offset 0
		.amdhsa_system_sgpr_workgroup_id_x 1
		.amdhsa_system_sgpr_workgroup_id_y 0
		.amdhsa_system_sgpr_workgroup_id_z 0
		.amdhsa_system_sgpr_workgroup_info 0
		.amdhsa_system_vgpr_workitem_id 0
		.amdhsa_next_free_vgpr 24
		.amdhsa_next_free_sgpr 24
		.amdhsa_accum_offset 24
		.amdhsa_reserve_vcc 1
		.amdhsa_reserve_flat_scratch 0
		.amdhsa_float_round_mode_32 0
		.amdhsa_float_round_mode_16_64 0
		.amdhsa_float_denorm_mode_32 3
		.amdhsa_float_denorm_mode_16_64 3
		.amdhsa_dx10_clamp 1
		.amdhsa_ieee_mode 1
		.amdhsa_fp16_overflow 0
		.amdhsa_tg_split 0
		.amdhsa_exception_fp_ieee_invalid_op 0
		.amdhsa_exception_fp_denorm_src 0
		.amdhsa_exception_fp_ieee_div_zero 0
		.amdhsa_exception_fp_ieee_overflow 0
		.amdhsa_exception_fp_ieee_underflow 0
		.amdhsa_exception_fp_ieee_inexact 0
		.amdhsa_exception_int_div_zero 0
	.end_amdhsa_kernel
	.section	.text._ZN9rocsparseL16sddmm_ell_kernelILi512ELi8E21rocsparse_complex_numIfEiiS2_S2_S2_EEv20rocsparse_operation_S3_16rocsparse_order_S4_T3_S5_S5_T2_NS_24const_host_device_scalarIT1_EEPKT4_lPKT5_lS9_PT6_PKS5_21rocsparse_index_base_b,"axG",@progbits,_ZN9rocsparseL16sddmm_ell_kernelILi512ELi8E21rocsparse_complex_numIfEiiS2_S2_S2_EEv20rocsparse_operation_S3_16rocsparse_order_S4_T3_S5_S5_T2_NS_24const_host_device_scalarIT1_EEPKT4_lPKT5_lS9_PT6_PKS5_21rocsparse_index_base_b,comdat
.Lfunc_end20:
	.size	_ZN9rocsparseL16sddmm_ell_kernelILi512ELi8E21rocsparse_complex_numIfEiiS2_S2_S2_EEv20rocsparse_operation_S3_16rocsparse_order_S4_T3_S5_S5_T2_NS_24const_host_device_scalarIT1_EEPKT4_lPKT5_lS9_PT6_PKS5_21rocsparse_index_base_b, .Lfunc_end20-_ZN9rocsparseL16sddmm_ell_kernelILi512ELi8E21rocsparse_complex_numIfEiiS2_S2_S2_EEv20rocsparse_operation_S3_16rocsparse_order_S4_T3_S5_S5_T2_NS_24const_host_device_scalarIT1_EEPKT4_lPKT5_lS9_PT6_PKS5_21rocsparse_index_base_b
                                        ; -- End function
	.section	.AMDGPU.csdata,"",@progbits
; Kernel info:
; codeLenInByte = 1460
; NumSgprs: 28
; NumVgprs: 24
; NumAgprs: 0
; TotalNumVgprs: 24
; ScratchSize: 0
; MemoryBound: 0
; FloatMode: 240
; IeeeMode: 1
; LDSByteSize: 4096 bytes/workgroup (compile time only)
; SGPRBlocks: 3
; VGPRBlocks: 2
; NumSGPRsForWavesPerEU: 28
; NumVGPRsForWavesPerEU: 24
; AccumOffset: 24
; Occupancy: 8
; WaveLimiterHint : 0
; COMPUTE_PGM_RSRC2:SCRATCH_EN: 0
; COMPUTE_PGM_RSRC2:USER_SGPR: 6
; COMPUTE_PGM_RSRC2:TRAP_HANDLER: 0
; COMPUTE_PGM_RSRC2:TGID_X_EN: 1
; COMPUTE_PGM_RSRC2:TGID_Y_EN: 0
; COMPUTE_PGM_RSRC2:TGID_Z_EN: 0
; COMPUTE_PGM_RSRC2:TIDIG_COMP_CNT: 0
; COMPUTE_PGM_RSRC3_GFX90A:ACCUM_OFFSET: 5
; COMPUTE_PGM_RSRC3_GFX90A:TG_SPLIT: 0
	.section	.text._ZN9rocsparseL16sddmm_ell_kernelILi512ELi4E21rocsparse_complex_numIfEiiS2_S2_S2_EEv20rocsparse_operation_S3_16rocsparse_order_S4_T3_S5_S5_T2_NS_24const_host_device_scalarIT1_EEPKT4_lPKT5_lS9_PT6_PKS5_21rocsparse_index_base_b,"axG",@progbits,_ZN9rocsparseL16sddmm_ell_kernelILi512ELi4E21rocsparse_complex_numIfEiiS2_S2_S2_EEv20rocsparse_operation_S3_16rocsparse_order_S4_T3_S5_S5_T2_NS_24const_host_device_scalarIT1_EEPKT4_lPKT5_lS9_PT6_PKS5_21rocsparse_index_base_b,comdat
	.globl	_ZN9rocsparseL16sddmm_ell_kernelILi512ELi4E21rocsparse_complex_numIfEiiS2_S2_S2_EEv20rocsparse_operation_S3_16rocsparse_order_S4_T3_S5_S5_T2_NS_24const_host_device_scalarIT1_EEPKT4_lPKT5_lS9_PT6_PKS5_21rocsparse_index_base_b ; -- Begin function _ZN9rocsparseL16sddmm_ell_kernelILi512ELi4E21rocsparse_complex_numIfEiiS2_S2_S2_EEv20rocsparse_operation_S3_16rocsparse_order_S4_T3_S5_S5_T2_NS_24const_host_device_scalarIT1_EEPKT4_lPKT5_lS9_PT6_PKS5_21rocsparse_index_base_b
	.p2align	8
	.type	_ZN9rocsparseL16sddmm_ell_kernelILi512ELi4E21rocsparse_complex_numIfEiiS2_S2_S2_EEv20rocsparse_operation_S3_16rocsparse_order_S4_T3_S5_S5_T2_NS_24const_host_device_scalarIT1_EEPKT4_lPKT5_lS9_PT6_PKS5_21rocsparse_index_base_b,@function
_ZN9rocsparseL16sddmm_ell_kernelILi512ELi4E21rocsparse_complex_numIfEiiS2_S2_S2_EEv20rocsparse_operation_S3_16rocsparse_order_S4_T3_S5_S5_T2_NS_24const_host_device_scalarIT1_EEPKT4_lPKT5_lS9_PT6_PKS5_21rocsparse_index_base_b: ; @_ZN9rocsparseL16sddmm_ell_kernelILi512ELi4E21rocsparse_complex_numIfEiiS2_S2_S2_EEv20rocsparse_operation_S3_16rocsparse_order_S4_T3_S5_S5_T2_NS_24const_host_device_scalarIT1_EEPKT4_lPKT5_lS9_PT6_PKS5_21rocsparse_index_base_b
; %bb.0:
	s_load_dwordx2 s[2:3], s[4:5], 0x60
	s_load_dwordx2 s[12:13], s[4:5], 0x20
	s_waitcnt lgkmcnt(0)
	s_bitcmp1_b32 s3, 0
	s_cselect_b64 s[0:1], -1, 0
	s_xor_b64 s[14:15], s[0:1], -1
	s_and_b64 vcc, exec, s[0:1]
	v_mov_b32_e32 v1, s12
	s_cbranch_vccnz .LBB21_2
; %bb.1:
	v_pk_mov_b32 v[2:3], s[12:13], s[12:13] op_sel:[0,1]
	flat_load_dword v1, v[2:3]
.LBB21_2:
	s_load_dwordx4 s[8:11], s[4:5], 0x40
	v_cndmask_b32_e64 v2, 0, 1, s[14:15]
	v_cmp_ne_u32_e64 s[0:1], 1, v2
	s_andn2_b64 vcc, exec, s[14:15]
	v_mov_b32_e32 v3, s13
	s_cbranch_vccz .LBB21_15
; %bb.3:
	s_and_b64 vcc, exec, s[0:1]
	s_waitcnt lgkmcnt(0)
	v_mov_b32_e32 v4, s10
	s_cbranch_vccz .LBB21_16
.LBB21_4:
	s_and_b64 vcc, exec, s[0:1]
	v_mov_b32_e32 v6, s11
	s_cbranch_vccnz .LBB21_6
.LBB21_5:
	v_pk_mov_b32 v[6:7], s[10:11], s[10:11] op_sel:[0,1]
	flat_load_dword v6, v[6:7] offset:4
.LBB21_6:
	s_waitcnt vmcnt(0)
	v_or_b32_e32 v2, v1, v3
	v_and_b32_e32 v2, 0x7fffffff, v2
	v_cmp_eq_u32_e32 vcc, 0, v2
	s_mov_b64 s[0:1], -1
	s_and_saveexec_b64 s[10:11], vcc
	s_cbranch_execz .LBB21_8
; %bb.7:
	s_waitcnt lgkmcnt(0)
	v_cmp_neq_f32_e32 vcc, 1.0, v4
	v_cmp_neq_f32_e64 s[0:1], 0, v6
	s_or_b64 s[0:1], vcc, s[0:1]
	s_orn2_b64 s[0:1], s[0:1], exec
.LBB21_8:
	s_or_b64 exec, exec, s[10:11]
	s_and_saveexec_b64 s[10:11], s[0:1]
	s_cbranch_execz .LBB21_39
; %bb.9:
	s_load_dwordx2 s[10:11], s[4:5], 0x18
	v_lshrrev_b32_e32 v2, 2, v0
	v_lshl_or_b32 v8, s6, 7, v2
	s_waitcnt lgkmcnt(0)
	v_cmp_gt_i32_e32 vcc, s11, v8
	s_and_b64 exec, exec, vcc
	s_cbranch_execz .LBB21_39
; %bb.10:
	s_load_dwordx2 s[0:1], s[4:5], 0x58
	v_ashrrev_i32_e32 v9, 31, v8
	v_lshlrev_b64 v[10:11], 2, v[8:9]
	s_waitcnt lgkmcnt(0)
	v_mov_b32_e32 v5, s1
	v_add_co_u32_e32 v10, vcc, s0, v10
	v_addc_co_u32_e32 v11, vcc, v5, v11, vcc
	global_load_dword v5, v[10:11], off
	s_waitcnt vmcnt(0)
	v_subrev_u32_e32 v10, s2, v5
	v_cmp_lt_i32_e32 vcc, -1, v10
	s_and_b64 exec, exec, vcc
	s_cbranch_execz .LBB21_39
; %bb.11:
	s_load_dwordx4 s[0:3], s[4:5], 0x0
	s_load_dword s11, s[4:5], 0x10
	v_sub_u32_e32 v7, 0, v8
	v_max_i32_e32 v7, v8, v7
	s_load_dwordx2 s[14:15], s[4:5], 0x30
	s_waitcnt lgkmcnt(0)
	s_cmp_eq_u32 s2, 1
	s_cselect_b64 s[6:7], -1, 0
	s_cmpk_eq_i32 s0, 0x6f
	s_cselect_b64 s[12:13], -1, 0
	s_cmpk_lg_i32 s0, 0x6f
	s_cselect_b64 s[16:17], -1, 0
	s_abs_i32 s0, s11
	v_cvt_f32_u32_e32 v5, s0
	s_sub_i32 s11, 0, s0
	s_cmp_lg_u32 s2, 1
	v_rcp_iflag_f32_e32 v5, v5
	v_mul_f32_e32 v5, 0x4f7ffffe, v5
	v_cvt_u32_f32_e32 v5, v5
	v_mul_lo_u32 v11, s11, v5
	v_mul_hi_u32 v11, v5, v11
	v_add_u32_e32 v5, v5, v11
	v_mul_hi_u32 v5, v7, v5
	v_mul_lo_u32 v5, v5, s0
	v_sub_u32_e32 v5, v7, v5
	v_subrev_u32_e32 v7, s0, v5
	v_cmp_le_u32_e32 vcc, s0, v5
	v_cndmask_b32_e32 v5, v5, v7, vcc
	v_subrev_u32_e32 v7, s0, v5
	v_cmp_le_u32_e32 vcc, s0, v5
	v_cndmask_b32_e32 v5, v5, v7, vcc
	v_xor_b32_e32 v5, v5, v9
	v_sub_u32_e32 v14, v5, v9
	v_ashrrev_i32_e32 v15, 31, v14
	s_cbranch_scc0 .LBB21_17
; %bb.12:
	s_andn2_b64 vcc, exec, s[12:13]
	v_pk_mov_b32 v[12:13], v[14:15], v[14:15] op_sel:[0,1]
	s_cbranch_vccnz .LBB21_14
; %bb.13:
	v_mul_lo_u32 v5, v15, s14
	v_mul_lo_u32 v7, v14, s15
	v_mad_u64_u32 v[12:13], s[18:19], v14, s14, 0
	v_add3_u32 v13, v13, v7, v5
.LBB21_14:
	s_cbranch_execz .LBB21_18
	s_branch .LBB21_21
.LBB21_15:
	v_pk_mov_b32 v[2:3], s[12:13], s[12:13] op_sel:[0,1]
	flat_load_dword v3, v[2:3] offset:4
	s_and_b64 vcc, exec, s[0:1]
	s_waitcnt lgkmcnt(0)
	v_mov_b32_e32 v4, s10
	s_cbranch_vccnz .LBB21_4
.LBB21_16:
	v_pk_mov_b32 v[4:5], s[10:11], s[10:11] op_sel:[0,1]
	flat_load_dword v4, v[4:5]
	s_and_b64 vcc, exec, s[0:1]
	v_mov_b32_e32 v6, s11
	s_cbranch_vccz .LBB21_5
	s_branch .LBB21_6
.LBB21_17:
                                        ; implicit-def: $vgpr12_vgpr13
.LBB21_18:
	s_andn2_b64 vcc, exec, s[16:17]
	s_cbranch_vccnz .LBB21_20
; %bb.19:
	v_mul_lo_u32 v5, v15, s14
	v_mul_lo_u32 v7, v14, s15
	v_mad_u64_u32 v[14:15], s[16:17], v14, s14, 0
	v_add3_u32 v15, v15, v7, v5
.LBB21_20:
	v_pk_mov_b32 v[12:13], v[14:15], v[14:15] op_sel:[0,1]
.LBB21_21:
	s_cmp_eq_u32 s3, 1
	s_cselect_b64 s[16:17], -1, 0
	s_cmpk_eq_i32 s1, 0x6f
	s_cselect_b64 s[18:19], -1, 0
	s_cmpk_lg_i32 s1, 0x6f
	s_cselect_b64 s[0:1], -1, 0
	s_cmp_lg_u32 s3, 1
	v_mov_b32_e32 v11, 0
	s_cbranch_scc0 .LBB21_25
; %bb.22:
	s_andn2_b64 vcc, exec, s[0:1]
	v_pk_mov_b32 v[14:15], v[10:11], v[10:11] op_sel:[0,1]
	s_cbranch_vccnz .LBB21_24
; %bb.23:
	v_mad_u64_u32 v[14:15], s[0:1], v10, s8, 0
	v_mov_b32_e32 v16, v15
	v_mad_u64_u32 v[16:17], s[0:1], v10, s9, v[16:17]
	v_mov_b32_e32 v15, v16
.LBB21_24:
	s_cbranch_execz .LBB21_26
	s_branch .LBB21_29
.LBB21_25:
                                        ; implicit-def: $vgpr14_vgpr15
.LBB21_26:
	s_andn2_b64 vcc, exec, s[18:19]
	s_cbranch_vccnz .LBB21_28
; %bb.27:
	v_mad_u64_u32 v[14:15], s[0:1], v10, s8, 0
	v_mov_b32_e32 v16, v15
	v_mad_u64_u32 v[10:11], s[0:1], v10, s9, v[16:17]
	v_mov_b32_e32 v15, v10
	v_pk_mov_b32 v[10:11], v[14:15], v[14:15] op_sel:[0,1]
.LBB21_28:
	v_pk_mov_b32 v[14:15], v[10:11], v[10:11] op_sel:[0,1]
.LBB21_29:
	s_load_dwordx2 s[0:1], s[4:5], 0x50
	v_and_b32_e32 v5, 3, v0
	v_mov_b32_e32 v11, 0
	v_cmp_gt_i32_e32 vcc, s10, v5
	v_mov_b32_e32 v10, v11
	s_and_saveexec_b64 s[2:3], vcc
	s_cbranch_execz .LBB21_33
; %bb.30:
	s_load_dwordx2 s[20:21], s[4:5], 0x28
	s_load_dwordx2 s[22:23], s[4:5], 0x38
	s_xor_b64 s[4:5], s[12:13], s[6:7]
	s_and_b64 s[4:5], s[4:5], exec
	s_cselect_b32 s5, 0, s15
	s_cselect_b32 s4, 1, s14
	s_xor_b64 s[6:7], s[18:19], s[16:17]
	s_and_b64 s[6:7], s[6:7], exec
	v_and_b32_e32 v7, 3, v0
	s_cselect_b32 s7, s9, 0
	s_cselect_b32 s6, s8, 1
	v_mad_u64_u32 v[10:11], s[8:9], s4, v7, 0
	v_mov_b32_e32 v0, v11
	v_mad_u64_u32 v[16:17], s[8:9], s5, v7, v[0:1]
	v_mov_b32_e32 v11, v16
	v_lshlrev_b64 v[10:11], 3, v[10:11]
	v_lshlrev_b64 v[12:13], 3, v[12:13]
	v_add_co_u32_e32 v0, vcc, v10, v12
	v_addc_co_u32_e32 v10, vcc, v11, v13, vcc
	s_waitcnt lgkmcnt(0)
	v_mov_b32_e32 v11, s21
	v_add_co_u32_e32 v12, vcc, s20, v0
	v_addc_co_u32_e32 v13, vcc, v11, v10, vcc
	v_mad_u64_u32 v[10:11], s[8:9], s6, v7, 0
	v_mov_b32_e32 v0, v11
	v_mad_u64_u32 v[16:17], s[8:9], s7, v7, v[0:1]
	v_mov_b32_e32 v11, v16
	v_lshlrev_b64 v[10:11], 3, v[10:11]
	v_lshlrev_b64 v[14:15], 3, v[14:15]
	v_add_co_u32_e32 v0, vcc, v10, v14
	v_addc_co_u32_e32 v7, vcc, v11, v15, vcc
	v_mov_b32_e32 v10, s23
	v_add_co_u32_e32 v0, vcc, s22, v0
	v_addc_co_u32_e32 v7, vcc, v7, v10, vcc
	s_lshl_b64 s[4:5], s[4:5], 5
	v_add_co_u32_e32 v14, vcc, 4, v0
	s_lshl_b64 s[8:9], s[6:7], 5
	v_mov_b32_e32 v10, 0
	v_addc_co_u32_e32 v15, vcc, 0, v7, vcc
	s_mov_b64 s[6:7], 0
	v_mov_b32_e32 v0, s5
	v_mov_b32_e32 v7, s9
	;; [unrolled: 1-line block ×4, first 2 shown]
.LBB21_31:                              ; =>This Inner Loop Header: Depth=1
	global_load_dwordx2 v[18:19], v[12:13], off
	global_load_dwordx2 v[20:21], v[14:15], off offset:-4
	v_add_co_u32_e32 v12, vcc, s4, v12
	v_addc_co_u32_e32 v13, vcc, v13, v0, vcc
	v_add_co_u32_e32 v14, vcc, s8, v14
	v_add_u32_e32 v16, 4, v16
	v_addc_co_u32_e32 v15, vcc, v15, v7, vcc
	v_cmp_le_i32_e32 vcc, s10, v16
	s_or_b64 s[6:7], vcc, s[6:7]
	s_waitcnt vmcnt(0)
	v_pk_mul_f32 v[22:23], v[20:21], v[18:19] op_sel:[1,1] op_sel_hi:[1,0] neg_lo:[0,1]
	v_pk_fma_f32 v[18:19], v[18:19], v[20:21], v[22:23] op_sel_hi:[1,0,1]
	v_pk_add_f32 v[10:11], v[10:11], v[18:19]
	s_andn2_b64 exec, exec, s[6:7]
	s_cbranch_execnz .LBB21_31
; %bb.32:
	s_or_b64 exec, exec, s[6:7]
.LBB21_33:
	s_or_b64 exec, exec, s[2:3]
	v_lshlrev_b32_e32 v0, 3, v5
	v_lshl_or_b32 v0, v2, 5, v0
	v_cmp_gt_u32_e32 vcc, 2, v5
	ds_write_b64 v0, v[10:11]
	s_waitcnt lgkmcnt(0)
	s_barrier
	s_and_saveexec_b64 s[2:3], vcc
	s_cbranch_execz .LBB21_35
; %bb.34:
	ds_read2_b64 v[10:13], v0 offset1:2
	s_waitcnt lgkmcnt(0)
	v_pk_add_f32 v[10:11], v[12:13], v[10:11]
	ds_write_b64 v0, v[10:11]
.LBB21_35:
	s_or_b64 exec, exec, s[2:3]
	v_cmp_eq_u32_e32 vcc, 0, v5
	v_lshlrev_b32_e32 v2, 5, v2
	s_waitcnt lgkmcnt(0)
	s_barrier
	s_and_saveexec_b64 s[2:3], vcc
	s_cbranch_execz .LBB21_37
; %bb.36:
	ds_read_b64 v[10:11], v2 offset:8
	ds_read_b64 v[12:13], v0
	s_waitcnt lgkmcnt(0)
	v_pk_add_f32 v[10:11], v[10:11], v[12:13]
	ds_write_b64 v0, v[10:11]
.LBB21_37:
	s_or_b64 exec, exec, s[2:3]
	s_waitcnt lgkmcnt(0)
	s_barrier
	s_and_b64 exec, exec, vcc
	s_cbranch_execz .LBB21_39
; %bb.38:
	v_lshlrev_b64 v[8:9], 3, v[8:9]
	v_mov_b32_e32 v0, s1
	v_add_co_u32_e32 v8, vcc, s0, v8
	v_addc_co_u32_e32 v9, vcc, v0, v9, vcc
	global_load_dwordx2 v[10:11], v[8:9], off
	ds_read_b64 v[12:13], v2
	v_xor_b32_e32 v15, 0x80000000, v3
	s_waitcnt lgkmcnt(0)
	v_mov_b32_e32 v7, v13
	v_mov_b32_e32 v5, v12
	s_waitcnt vmcnt(0)
	v_mov_b32_e32 v14, v10
	v_mov_b32_e32 v0, v11
	v_pk_mul_f32 v[12:13], v[6:7], v[14:15]
	v_pk_fma_f32 v[12:13], v[0:1], v[4:5], v[12:13]
	v_xor_b32_e32 v0, 0x80000000, v11
	v_mov_b32_e32 v2, v10
	v_pk_mul_f32 v[0:1], v[6:7], v[0:1]
	v_pk_fma_f32 v[0:1], v[2:3], v[4:5], v[0:1]
	v_pk_add_f32 v[0:1], v[12:13], v[0:1] op_sel:[0,1] op_sel_hi:[1,0]
	v_mov_b32_e32 v2, v1
	v_mov_b32_e32 v3, v0
	global_store_dwordx2 v[8:9], v[2:3], off
.LBB21_39:
	s_endpgm
	.section	.rodata,"a",@progbits
	.p2align	6, 0x0
	.amdhsa_kernel _ZN9rocsparseL16sddmm_ell_kernelILi512ELi4E21rocsparse_complex_numIfEiiS2_S2_S2_EEv20rocsparse_operation_S3_16rocsparse_order_S4_T3_S5_S5_T2_NS_24const_host_device_scalarIT1_EEPKT4_lPKT5_lS9_PT6_PKS5_21rocsparse_index_base_b
		.amdhsa_group_segment_fixed_size 4096
		.amdhsa_private_segment_fixed_size 0
		.amdhsa_kernarg_size 104
		.amdhsa_user_sgpr_count 6
		.amdhsa_user_sgpr_private_segment_buffer 1
		.amdhsa_user_sgpr_dispatch_ptr 0
		.amdhsa_user_sgpr_queue_ptr 0
		.amdhsa_user_sgpr_kernarg_segment_ptr 1
		.amdhsa_user_sgpr_dispatch_id 0
		.amdhsa_user_sgpr_flat_scratch_init 0
		.amdhsa_user_sgpr_kernarg_preload_length 0
		.amdhsa_user_sgpr_kernarg_preload_offset 0
		.amdhsa_user_sgpr_private_segment_size 0
		.amdhsa_uses_dynamic_stack 0
		.amdhsa_system_sgpr_private_segment_wavefront_offset 0
		.amdhsa_system_sgpr_workgroup_id_x 1
		.amdhsa_system_sgpr_workgroup_id_y 0
		.amdhsa_system_sgpr_workgroup_id_z 0
		.amdhsa_system_sgpr_workgroup_info 0
		.amdhsa_system_vgpr_workitem_id 0
		.amdhsa_next_free_vgpr 24
		.amdhsa_next_free_sgpr 24
		.amdhsa_accum_offset 24
		.amdhsa_reserve_vcc 1
		.amdhsa_reserve_flat_scratch 0
		.amdhsa_float_round_mode_32 0
		.amdhsa_float_round_mode_16_64 0
		.amdhsa_float_denorm_mode_32 3
		.amdhsa_float_denorm_mode_16_64 3
		.amdhsa_dx10_clamp 1
		.amdhsa_ieee_mode 1
		.amdhsa_fp16_overflow 0
		.amdhsa_tg_split 0
		.amdhsa_exception_fp_ieee_invalid_op 0
		.amdhsa_exception_fp_denorm_src 0
		.amdhsa_exception_fp_ieee_div_zero 0
		.amdhsa_exception_fp_ieee_overflow 0
		.amdhsa_exception_fp_ieee_underflow 0
		.amdhsa_exception_fp_ieee_inexact 0
		.amdhsa_exception_int_div_zero 0
	.end_amdhsa_kernel
	.section	.text._ZN9rocsparseL16sddmm_ell_kernelILi512ELi4E21rocsparse_complex_numIfEiiS2_S2_S2_EEv20rocsparse_operation_S3_16rocsparse_order_S4_T3_S5_S5_T2_NS_24const_host_device_scalarIT1_EEPKT4_lPKT5_lS9_PT6_PKS5_21rocsparse_index_base_b,"axG",@progbits,_ZN9rocsparseL16sddmm_ell_kernelILi512ELi4E21rocsparse_complex_numIfEiiS2_S2_S2_EEv20rocsparse_operation_S3_16rocsparse_order_S4_T3_S5_S5_T2_NS_24const_host_device_scalarIT1_EEPKT4_lPKT5_lS9_PT6_PKS5_21rocsparse_index_base_b,comdat
.Lfunc_end21:
	.size	_ZN9rocsparseL16sddmm_ell_kernelILi512ELi4E21rocsparse_complex_numIfEiiS2_S2_S2_EEv20rocsparse_operation_S3_16rocsparse_order_S4_T3_S5_S5_T2_NS_24const_host_device_scalarIT1_EEPKT4_lPKT5_lS9_PT6_PKS5_21rocsparse_index_base_b, .Lfunc_end21-_ZN9rocsparseL16sddmm_ell_kernelILi512ELi4E21rocsparse_complex_numIfEiiS2_S2_S2_EEv20rocsparse_operation_S3_16rocsparse_order_S4_T3_S5_S5_T2_NS_24const_host_device_scalarIT1_EEPKT4_lPKT5_lS9_PT6_PKS5_21rocsparse_index_base_b
                                        ; -- End function
	.section	.AMDGPU.csdata,"",@progbits
; Kernel info:
; codeLenInByte = 1408
; NumSgprs: 28
; NumVgprs: 24
; NumAgprs: 0
; TotalNumVgprs: 24
; ScratchSize: 0
; MemoryBound: 0
; FloatMode: 240
; IeeeMode: 1
; LDSByteSize: 4096 bytes/workgroup (compile time only)
; SGPRBlocks: 3
; VGPRBlocks: 2
; NumSGPRsForWavesPerEU: 28
; NumVGPRsForWavesPerEU: 24
; AccumOffset: 24
; Occupancy: 8
; WaveLimiterHint : 0
; COMPUTE_PGM_RSRC2:SCRATCH_EN: 0
; COMPUTE_PGM_RSRC2:USER_SGPR: 6
; COMPUTE_PGM_RSRC2:TRAP_HANDLER: 0
; COMPUTE_PGM_RSRC2:TGID_X_EN: 1
; COMPUTE_PGM_RSRC2:TGID_Y_EN: 0
; COMPUTE_PGM_RSRC2:TGID_Z_EN: 0
; COMPUTE_PGM_RSRC2:TIDIG_COMP_CNT: 0
; COMPUTE_PGM_RSRC3_GFX90A:ACCUM_OFFSET: 5
; COMPUTE_PGM_RSRC3_GFX90A:TG_SPLIT: 0
	.section	.text._ZN9rocsparseL16sddmm_ell_kernelILi512ELi2E21rocsparse_complex_numIfEiiS2_S2_S2_EEv20rocsparse_operation_S3_16rocsparse_order_S4_T3_S5_S5_T2_NS_24const_host_device_scalarIT1_EEPKT4_lPKT5_lS9_PT6_PKS5_21rocsparse_index_base_b,"axG",@progbits,_ZN9rocsparseL16sddmm_ell_kernelILi512ELi2E21rocsparse_complex_numIfEiiS2_S2_S2_EEv20rocsparse_operation_S3_16rocsparse_order_S4_T3_S5_S5_T2_NS_24const_host_device_scalarIT1_EEPKT4_lPKT5_lS9_PT6_PKS5_21rocsparse_index_base_b,comdat
	.globl	_ZN9rocsparseL16sddmm_ell_kernelILi512ELi2E21rocsparse_complex_numIfEiiS2_S2_S2_EEv20rocsparse_operation_S3_16rocsparse_order_S4_T3_S5_S5_T2_NS_24const_host_device_scalarIT1_EEPKT4_lPKT5_lS9_PT6_PKS5_21rocsparse_index_base_b ; -- Begin function _ZN9rocsparseL16sddmm_ell_kernelILi512ELi2E21rocsparse_complex_numIfEiiS2_S2_S2_EEv20rocsparse_operation_S3_16rocsparse_order_S4_T3_S5_S5_T2_NS_24const_host_device_scalarIT1_EEPKT4_lPKT5_lS9_PT6_PKS5_21rocsparse_index_base_b
	.p2align	8
	.type	_ZN9rocsparseL16sddmm_ell_kernelILi512ELi2E21rocsparse_complex_numIfEiiS2_S2_S2_EEv20rocsparse_operation_S3_16rocsparse_order_S4_T3_S5_S5_T2_NS_24const_host_device_scalarIT1_EEPKT4_lPKT5_lS9_PT6_PKS5_21rocsparse_index_base_b,@function
_ZN9rocsparseL16sddmm_ell_kernelILi512ELi2E21rocsparse_complex_numIfEiiS2_S2_S2_EEv20rocsparse_operation_S3_16rocsparse_order_S4_T3_S5_S5_T2_NS_24const_host_device_scalarIT1_EEPKT4_lPKT5_lS9_PT6_PKS5_21rocsparse_index_base_b: ; @_ZN9rocsparseL16sddmm_ell_kernelILi512ELi2E21rocsparse_complex_numIfEiiS2_S2_S2_EEv20rocsparse_operation_S3_16rocsparse_order_S4_T3_S5_S5_T2_NS_24const_host_device_scalarIT1_EEPKT4_lPKT5_lS9_PT6_PKS5_21rocsparse_index_base_b
; %bb.0:
	s_load_dwordx2 s[2:3], s[4:5], 0x60
	s_load_dwordx2 s[12:13], s[4:5], 0x20
	s_waitcnt lgkmcnt(0)
	s_bitcmp1_b32 s3, 0
	s_cselect_b64 s[0:1], -1, 0
	s_xor_b64 s[14:15], s[0:1], -1
	s_and_b64 vcc, exec, s[0:1]
	v_mov_b32_e32 v1, s12
	s_cbranch_vccnz .LBB22_2
; %bb.1:
	v_pk_mov_b32 v[2:3], s[12:13], s[12:13] op_sel:[0,1]
	flat_load_dword v1, v[2:3]
.LBB22_2:
	s_load_dwordx4 s[8:11], s[4:5], 0x40
	v_cndmask_b32_e64 v2, 0, 1, s[14:15]
	v_cmp_ne_u32_e64 s[0:1], 1, v2
	s_andn2_b64 vcc, exec, s[14:15]
	v_mov_b32_e32 v3, s13
	s_cbranch_vccz .LBB22_15
; %bb.3:
	s_and_b64 vcc, exec, s[0:1]
	s_waitcnt lgkmcnt(0)
	v_mov_b32_e32 v4, s10
	s_cbranch_vccz .LBB22_16
.LBB22_4:
	s_and_b64 vcc, exec, s[0:1]
	v_mov_b32_e32 v6, s11
	s_cbranch_vccnz .LBB22_6
.LBB22_5:
	v_pk_mov_b32 v[6:7], s[10:11], s[10:11] op_sel:[0,1]
	flat_load_dword v6, v[6:7] offset:4
.LBB22_6:
	s_waitcnt vmcnt(0)
	v_or_b32_e32 v2, v1, v3
	v_and_b32_e32 v2, 0x7fffffff, v2
	v_cmp_eq_u32_e32 vcc, 0, v2
	s_mov_b64 s[0:1], -1
	s_and_saveexec_b64 s[10:11], vcc
	s_cbranch_execz .LBB22_8
; %bb.7:
	s_waitcnt lgkmcnt(0)
	v_cmp_neq_f32_e32 vcc, 1.0, v4
	v_cmp_neq_f32_e64 s[0:1], 0, v6
	s_or_b64 s[0:1], vcc, s[0:1]
	s_orn2_b64 s[0:1], s[0:1], exec
.LBB22_8:
	s_or_b64 exec, exec, s[10:11]
	s_and_saveexec_b64 s[10:11], s[0:1]
	s_cbranch_execz .LBB22_37
; %bb.9:
	s_load_dwordx2 s[10:11], s[4:5], 0x18
	v_lshrrev_b32_e32 v2, 1, v0
	v_lshl_or_b32 v8, s6, 8, v2
	s_waitcnt lgkmcnt(0)
	v_cmp_gt_i32_e32 vcc, s11, v8
	s_and_b64 exec, exec, vcc
	s_cbranch_execz .LBB22_37
; %bb.10:
	s_load_dwordx2 s[0:1], s[4:5], 0x58
	v_ashrrev_i32_e32 v9, 31, v8
	v_lshlrev_b64 v[10:11], 2, v[8:9]
	s_waitcnt lgkmcnt(0)
	v_mov_b32_e32 v5, s1
	v_add_co_u32_e32 v10, vcc, s0, v10
	v_addc_co_u32_e32 v11, vcc, v5, v11, vcc
	global_load_dword v5, v[10:11], off
	s_waitcnt vmcnt(0)
	v_subrev_u32_e32 v10, s2, v5
	v_cmp_lt_i32_e32 vcc, -1, v10
	s_and_b64 exec, exec, vcc
	s_cbranch_execz .LBB22_37
; %bb.11:
	s_load_dwordx4 s[0:3], s[4:5], 0x0
	s_load_dword s11, s[4:5], 0x10
	v_sub_u32_e32 v7, 0, v8
	v_max_i32_e32 v7, v8, v7
	s_load_dwordx2 s[14:15], s[4:5], 0x30
	s_waitcnt lgkmcnt(0)
	s_cmp_eq_u32 s2, 1
	s_cselect_b64 s[6:7], -1, 0
	s_cmpk_eq_i32 s0, 0x6f
	s_cselect_b64 s[12:13], -1, 0
	s_cmpk_lg_i32 s0, 0x6f
	s_cselect_b64 s[16:17], -1, 0
	s_abs_i32 s0, s11
	v_cvt_f32_u32_e32 v5, s0
	s_sub_i32 s11, 0, s0
	s_cmp_lg_u32 s2, 1
	v_rcp_iflag_f32_e32 v5, v5
	v_mul_f32_e32 v5, 0x4f7ffffe, v5
	v_cvt_u32_f32_e32 v5, v5
	v_mul_lo_u32 v11, s11, v5
	v_mul_hi_u32 v11, v5, v11
	v_add_u32_e32 v5, v5, v11
	v_mul_hi_u32 v5, v7, v5
	v_mul_lo_u32 v5, v5, s0
	v_sub_u32_e32 v5, v7, v5
	v_subrev_u32_e32 v7, s0, v5
	v_cmp_le_u32_e32 vcc, s0, v5
	v_cndmask_b32_e32 v5, v5, v7, vcc
	v_subrev_u32_e32 v7, s0, v5
	v_cmp_le_u32_e32 vcc, s0, v5
	v_cndmask_b32_e32 v5, v5, v7, vcc
	v_xor_b32_e32 v5, v5, v9
	v_sub_u32_e32 v14, v5, v9
	v_ashrrev_i32_e32 v15, 31, v14
	s_cbranch_scc0 .LBB22_17
; %bb.12:
	s_andn2_b64 vcc, exec, s[12:13]
	v_pk_mov_b32 v[12:13], v[14:15], v[14:15] op_sel:[0,1]
	s_cbranch_vccnz .LBB22_14
; %bb.13:
	v_mul_lo_u32 v5, v15, s14
	v_mul_lo_u32 v7, v14, s15
	v_mad_u64_u32 v[12:13], s[18:19], v14, s14, 0
	v_add3_u32 v13, v13, v7, v5
.LBB22_14:
	s_cbranch_execz .LBB22_18
	s_branch .LBB22_21
.LBB22_15:
	v_pk_mov_b32 v[2:3], s[12:13], s[12:13] op_sel:[0,1]
	flat_load_dword v3, v[2:3] offset:4
	s_and_b64 vcc, exec, s[0:1]
	s_waitcnt lgkmcnt(0)
	v_mov_b32_e32 v4, s10
	s_cbranch_vccnz .LBB22_4
.LBB22_16:
	v_pk_mov_b32 v[4:5], s[10:11], s[10:11] op_sel:[0,1]
	flat_load_dword v4, v[4:5]
	s_and_b64 vcc, exec, s[0:1]
	v_mov_b32_e32 v6, s11
	s_cbranch_vccz .LBB22_5
	s_branch .LBB22_6
.LBB22_17:
                                        ; implicit-def: $vgpr12_vgpr13
.LBB22_18:
	s_andn2_b64 vcc, exec, s[16:17]
	s_cbranch_vccnz .LBB22_20
; %bb.19:
	v_mul_lo_u32 v5, v15, s14
	v_mul_lo_u32 v7, v14, s15
	v_mad_u64_u32 v[14:15], s[16:17], v14, s14, 0
	v_add3_u32 v15, v15, v7, v5
.LBB22_20:
	v_pk_mov_b32 v[12:13], v[14:15], v[14:15] op_sel:[0,1]
.LBB22_21:
	s_cmp_eq_u32 s3, 1
	s_cselect_b64 s[16:17], -1, 0
	s_cmpk_eq_i32 s1, 0x6f
	s_cselect_b64 s[18:19], -1, 0
	s_cmpk_lg_i32 s1, 0x6f
	s_cselect_b64 s[0:1], -1, 0
	s_cmp_lg_u32 s3, 1
	v_mov_b32_e32 v11, 0
	s_cbranch_scc0 .LBB22_25
; %bb.22:
	s_andn2_b64 vcc, exec, s[0:1]
	v_pk_mov_b32 v[14:15], v[10:11], v[10:11] op_sel:[0,1]
	s_cbranch_vccnz .LBB22_24
; %bb.23:
	v_mad_u64_u32 v[14:15], s[0:1], v10, s8, 0
	v_mov_b32_e32 v16, v15
	v_mad_u64_u32 v[16:17], s[0:1], v10, s9, v[16:17]
	v_mov_b32_e32 v15, v16
.LBB22_24:
	s_cbranch_execz .LBB22_26
	s_branch .LBB22_29
.LBB22_25:
                                        ; implicit-def: $vgpr14_vgpr15
.LBB22_26:
	s_andn2_b64 vcc, exec, s[18:19]
	s_cbranch_vccnz .LBB22_28
; %bb.27:
	v_mad_u64_u32 v[14:15], s[0:1], v10, s8, 0
	v_mov_b32_e32 v16, v15
	v_mad_u64_u32 v[10:11], s[0:1], v10, s9, v[16:17]
	v_mov_b32_e32 v15, v10
	v_pk_mov_b32 v[10:11], v[14:15], v[14:15] op_sel:[0,1]
.LBB22_28:
	v_pk_mov_b32 v[14:15], v[10:11], v[10:11] op_sel:[0,1]
.LBB22_29:
	s_load_dwordx2 s[0:1], s[4:5], 0x50
	v_and_b32_e32 v5, 1, v0
	v_mov_b32_e32 v11, 0
	v_cmp_gt_i32_e32 vcc, s10, v5
	v_mov_b32_e32 v10, v11
	s_and_saveexec_b64 s[2:3], vcc
	s_cbranch_execz .LBB22_33
; %bb.30:
	s_load_dwordx2 s[20:21], s[4:5], 0x28
	s_load_dwordx2 s[22:23], s[4:5], 0x38
	s_xor_b64 s[4:5], s[12:13], s[6:7]
	s_and_b64 s[4:5], s[4:5], exec
	s_cselect_b32 s5, 0, s15
	s_cselect_b32 s4, 1, s14
	v_and_b32_e32 v0, 1, v0
	v_mul_lo_u32 v11, s5, v0
	v_mul_lo_u32 v10, s4, v0
	v_lshlrev_b64 v[10:11], 3, v[10:11]
	v_lshlrev_b64 v[12:13], 3, v[12:13]
	s_xor_b64 s[6:7], s[18:19], s[16:17]
	v_add_co_u32_e32 v7, vcc, v10, v12
	s_and_b64 s[6:7], s[6:7], exec
	v_addc_co_u32_e32 v10, vcc, v11, v13, vcc
	s_cselect_b32 s7, s9, 0
	s_cselect_b32 s6, s8, 1
	s_waitcnt lgkmcnt(0)
	v_mov_b32_e32 v11, s21
	v_add_co_u32_e32 v12, vcc, s20, v7
	v_addc_co_u32_e32 v13, vcc, v11, v10, vcc
	v_mul_lo_u32 v11, s7, v0
	v_mul_lo_u32 v10, s6, v0
	v_lshlrev_b64 v[10:11], 3, v[10:11]
	v_lshlrev_b64 v[14:15], 3, v[14:15]
	v_add_co_u32_e32 v0, vcc, v10, v14
	v_addc_co_u32_e32 v7, vcc, v11, v15, vcc
	v_mov_b32_e32 v10, s23
	v_add_co_u32_e32 v0, vcc, s22, v0
	v_addc_co_u32_e32 v7, vcc, v7, v10, vcc
	s_lshl_b64 s[4:5], s[4:5], 4
	v_add_co_u32_e32 v14, vcc, 4, v0
	s_lshl_b64 s[8:9], s[6:7], 4
	v_mov_b32_e32 v10, 0
	v_addc_co_u32_e32 v15, vcc, 0, v7, vcc
	s_mov_b64 s[6:7], 0
	v_mov_b32_e32 v0, s5
	v_mov_b32_e32 v7, s9
	;; [unrolled: 1-line block ×4, first 2 shown]
.LBB22_31:                              ; =>This Inner Loop Header: Depth=1
	global_load_dwordx2 v[18:19], v[12:13], off
	global_load_dwordx2 v[20:21], v[14:15], off offset:-4
	v_add_co_u32_e32 v12, vcc, s4, v12
	v_addc_co_u32_e32 v13, vcc, v13, v0, vcc
	v_add_co_u32_e32 v14, vcc, s8, v14
	v_add_u32_e32 v16, 2, v16
	v_addc_co_u32_e32 v15, vcc, v15, v7, vcc
	v_cmp_le_i32_e32 vcc, s10, v16
	s_or_b64 s[6:7], vcc, s[6:7]
	s_waitcnt vmcnt(0)
	v_pk_mul_f32 v[22:23], v[20:21], v[18:19] op_sel:[1,1] op_sel_hi:[1,0] neg_lo:[0,1]
	v_pk_fma_f32 v[18:19], v[18:19], v[20:21], v[22:23] op_sel_hi:[1,0,1]
	v_pk_add_f32 v[10:11], v[10:11], v[18:19]
	s_andn2_b64 exec, exec, s[6:7]
	s_cbranch_execnz .LBB22_31
; %bb.32:
	s_or_b64 exec, exec, s[6:7]
.LBB22_33:
	s_or_b64 exec, exec, s[2:3]
	v_lshlrev_b32_e32 v0, 4, v2
	v_lshl_or_b32 v2, v5, 3, v0
	v_cmp_eq_u32_e32 vcc, 0, v5
	ds_write_b64 v2, v[10:11]
	s_waitcnt lgkmcnt(0)
	s_barrier
	s_and_saveexec_b64 s[2:3], vcc
	s_cbranch_execz .LBB22_35
; %bb.34:
	ds_read_b64 v[10:11], v0 offset:8
	ds_read_b64 v[12:13], v2
	s_waitcnt lgkmcnt(0)
	v_pk_add_f32 v[10:11], v[10:11], v[12:13]
	ds_write_b64 v2, v[10:11]
.LBB22_35:
	s_or_b64 exec, exec, s[2:3]
	s_waitcnt lgkmcnt(0)
	s_barrier
	s_and_b64 exec, exec, vcc
	s_cbranch_execz .LBB22_37
; %bb.36:
	v_lshlrev_b64 v[8:9], 3, v[8:9]
	v_mov_b32_e32 v2, s1
	v_add_co_u32_e32 v8, vcc, s0, v8
	v_addc_co_u32_e32 v9, vcc, v2, v9, vcc
	global_load_dwordx2 v[10:11], v[8:9], off
	ds_read_b64 v[12:13], v0
	v_xor_b32_e32 v15, 0x80000000, v3
	s_waitcnt lgkmcnt(0)
	v_mov_b32_e32 v7, v13
	v_mov_b32_e32 v5, v12
	s_waitcnt vmcnt(0)
	v_mov_b32_e32 v14, v10
	v_mov_b32_e32 v0, v11
	v_pk_mul_f32 v[12:13], v[6:7], v[14:15]
	v_pk_fma_f32 v[12:13], v[0:1], v[4:5], v[12:13]
	v_xor_b32_e32 v0, 0x80000000, v11
	v_mov_b32_e32 v2, v10
	v_pk_mul_f32 v[0:1], v[6:7], v[0:1]
	v_pk_fma_f32 v[0:1], v[2:3], v[4:5], v[0:1]
	v_pk_add_f32 v[0:1], v[12:13], v[0:1] op_sel:[0,1] op_sel_hi:[1,0]
	v_mov_b32_e32 v2, v1
	v_mov_b32_e32 v3, v0
	global_store_dwordx2 v[8:9], v[2:3], off
.LBB22_37:
	s_endpgm
	.section	.rodata,"a",@progbits
	.p2align	6, 0x0
	.amdhsa_kernel _ZN9rocsparseL16sddmm_ell_kernelILi512ELi2E21rocsparse_complex_numIfEiiS2_S2_S2_EEv20rocsparse_operation_S3_16rocsparse_order_S4_T3_S5_S5_T2_NS_24const_host_device_scalarIT1_EEPKT4_lPKT5_lS9_PT6_PKS5_21rocsparse_index_base_b
		.amdhsa_group_segment_fixed_size 4096
		.amdhsa_private_segment_fixed_size 0
		.amdhsa_kernarg_size 104
		.amdhsa_user_sgpr_count 6
		.amdhsa_user_sgpr_private_segment_buffer 1
		.amdhsa_user_sgpr_dispatch_ptr 0
		.amdhsa_user_sgpr_queue_ptr 0
		.amdhsa_user_sgpr_kernarg_segment_ptr 1
		.amdhsa_user_sgpr_dispatch_id 0
		.amdhsa_user_sgpr_flat_scratch_init 0
		.amdhsa_user_sgpr_kernarg_preload_length 0
		.amdhsa_user_sgpr_kernarg_preload_offset 0
		.amdhsa_user_sgpr_private_segment_size 0
		.amdhsa_uses_dynamic_stack 0
		.amdhsa_system_sgpr_private_segment_wavefront_offset 0
		.amdhsa_system_sgpr_workgroup_id_x 1
		.amdhsa_system_sgpr_workgroup_id_y 0
		.amdhsa_system_sgpr_workgroup_id_z 0
		.amdhsa_system_sgpr_workgroup_info 0
		.amdhsa_system_vgpr_workitem_id 0
		.amdhsa_next_free_vgpr 24
		.amdhsa_next_free_sgpr 24
		.amdhsa_accum_offset 24
		.amdhsa_reserve_vcc 1
		.amdhsa_reserve_flat_scratch 0
		.amdhsa_float_round_mode_32 0
		.amdhsa_float_round_mode_16_64 0
		.amdhsa_float_denorm_mode_32 3
		.amdhsa_float_denorm_mode_16_64 3
		.amdhsa_dx10_clamp 1
		.amdhsa_ieee_mode 1
		.amdhsa_fp16_overflow 0
		.amdhsa_tg_split 0
		.amdhsa_exception_fp_ieee_invalid_op 0
		.amdhsa_exception_fp_denorm_src 0
		.amdhsa_exception_fp_ieee_div_zero 0
		.amdhsa_exception_fp_ieee_overflow 0
		.amdhsa_exception_fp_ieee_underflow 0
		.amdhsa_exception_fp_ieee_inexact 0
		.amdhsa_exception_int_div_zero 0
	.end_amdhsa_kernel
	.section	.text._ZN9rocsparseL16sddmm_ell_kernelILi512ELi2E21rocsparse_complex_numIfEiiS2_S2_S2_EEv20rocsparse_operation_S3_16rocsparse_order_S4_T3_S5_S5_T2_NS_24const_host_device_scalarIT1_EEPKT4_lPKT5_lS9_PT6_PKS5_21rocsparse_index_base_b,"axG",@progbits,_ZN9rocsparseL16sddmm_ell_kernelILi512ELi2E21rocsparse_complex_numIfEiiS2_S2_S2_EEv20rocsparse_operation_S3_16rocsparse_order_S4_T3_S5_S5_T2_NS_24const_host_device_scalarIT1_EEPKT4_lPKT5_lS9_PT6_PKS5_21rocsparse_index_base_b,comdat
.Lfunc_end22:
	.size	_ZN9rocsparseL16sddmm_ell_kernelILi512ELi2E21rocsparse_complex_numIfEiiS2_S2_S2_EEv20rocsparse_operation_S3_16rocsparse_order_S4_T3_S5_S5_T2_NS_24const_host_device_scalarIT1_EEPKT4_lPKT5_lS9_PT6_PKS5_21rocsparse_index_base_b, .Lfunc_end22-_ZN9rocsparseL16sddmm_ell_kernelILi512ELi2E21rocsparse_complex_numIfEiiS2_S2_S2_EEv20rocsparse_operation_S3_16rocsparse_order_S4_T3_S5_S5_T2_NS_24const_host_device_scalarIT1_EEPKT4_lPKT5_lS9_PT6_PKS5_21rocsparse_index_base_b
                                        ; -- End function
	.section	.AMDGPU.csdata,"",@progbits
; Kernel info:
; codeLenInByte = 1336
; NumSgprs: 28
; NumVgprs: 24
; NumAgprs: 0
; TotalNumVgprs: 24
; ScratchSize: 0
; MemoryBound: 0
; FloatMode: 240
; IeeeMode: 1
; LDSByteSize: 4096 bytes/workgroup (compile time only)
; SGPRBlocks: 3
; VGPRBlocks: 2
; NumSGPRsForWavesPerEU: 28
; NumVGPRsForWavesPerEU: 24
; AccumOffset: 24
; Occupancy: 8
; WaveLimiterHint : 0
; COMPUTE_PGM_RSRC2:SCRATCH_EN: 0
; COMPUTE_PGM_RSRC2:USER_SGPR: 6
; COMPUTE_PGM_RSRC2:TRAP_HANDLER: 0
; COMPUTE_PGM_RSRC2:TGID_X_EN: 1
; COMPUTE_PGM_RSRC2:TGID_Y_EN: 0
; COMPUTE_PGM_RSRC2:TGID_Z_EN: 0
; COMPUTE_PGM_RSRC2:TIDIG_COMP_CNT: 0
; COMPUTE_PGM_RSRC3_GFX90A:ACCUM_OFFSET: 5
; COMPUTE_PGM_RSRC3_GFX90A:TG_SPLIT: 0
	.section	.text._ZN9rocsparseL16sddmm_ell_kernelILi512ELi1E21rocsparse_complex_numIfEiiS2_S2_S2_EEv20rocsparse_operation_S3_16rocsparse_order_S4_T3_S5_S5_T2_NS_24const_host_device_scalarIT1_EEPKT4_lPKT5_lS9_PT6_PKS5_21rocsparse_index_base_b,"axG",@progbits,_ZN9rocsparseL16sddmm_ell_kernelILi512ELi1E21rocsparse_complex_numIfEiiS2_S2_S2_EEv20rocsparse_operation_S3_16rocsparse_order_S4_T3_S5_S5_T2_NS_24const_host_device_scalarIT1_EEPKT4_lPKT5_lS9_PT6_PKS5_21rocsparse_index_base_b,comdat
	.globl	_ZN9rocsparseL16sddmm_ell_kernelILi512ELi1E21rocsparse_complex_numIfEiiS2_S2_S2_EEv20rocsparse_operation_S3_16rocsparse_order_S4_T3_S5_S5_T2_NS_24const_host_device_scalarIT1_EEPKT4_lPKT5_lS9_PT6_PKS5_21rocsparse_index_base_b ; -- Begin function _ZN9rocsparseL16sddmm_ell_kernelILi512ELi1E21rocsparse_complex_numIfEiiS2_S2_S2_EEv20rocsparse_operation_S3_16rocsparse_order_S4_T3_S5_S5_T2_NS_24const_host_device_scalarIT1_EEPKT4_lPKT5_lS9_PT6_PKS5_21rocsparse_index_base_b
	.p2align	8
	.type	_ZN9rocsparseL16sddmm_ell_kernelILi512ELi1E21rocsparse_complex_numIfEiiS2_S2_S2_EEv20rocsparse_operation_S3_16rocsparse_order_S4_T3_S5_S5_T2_NS_24const_host_device_scalarIT1_EEPKT4_lPKT5_lS9_PT6_PKS5_21rocsparse_index_base_b,@function
_ZN9rocsparseL16sddmm_ell_kernelILi512ELi1E21rocsparse_complex_numIfEiiS2_S2_S2_EEv20rocsparse_operation_S3_16rocsparse_order_S4_T3_S5_S5_T2_NS_24const_host_device_scalarIT1_EEPKT4_lPKT5_lS9_PT6_PKS5_21rocsparse_index_base_b: ; @_ZN9rocsparseL16sddmm_ell_kernelILi512ELi1E21rocsparse_complex_numIfEiiS2_S2_S2_EEv20rocsparse_operation_S3_16rocsparse_order_S4_T3_S5_S5_T2_NS_24const_host_device_scalarIT1_EEPKT4_lPKT5_lS9_PT6_PKS5_21rocsparse_index_base_b
; %bb.0:
	s_load_dwordx2 s[2:3], s[4:5], 0x60
	s_load_dwordx2 s[12:13], s[4:5], 0x20
	s_waitcnt lgkmcnt(0)
	s_bitcmp1_b32 s3, 0
	s_cselect_b64 s[0:1], -1, 0
	s_xor_b64 s[14:15], s[0:1], -1
	s_and_b64 vcc, exec, s[0:1]
	v_mov_b32_e32 v1, s12
	s_cbranch_vccnz .LBB23_2
; %bb.1:
	v_pk_mov_b32 v[2:3], s[12:13], s[12:13] op_sel:[0,1]
	flat_load_dword v1, v[2:3]
.LBB23_2:
	s_load_dwordx4 s[8:11], s[4:5], 0x40
	v_cndmask_b32_e64 v2, 0, 1, s[14:15]
	v_cmp_ne_u32_e64 s[0:1], 1, v2
	s_andn2_b64 vcc, exec, s[14:15]
	v_mov_b32_e32 v3, s13
	s_cbranch_vccz .LBB23_15
; %bb.3:
	s_and_b64 vcc, exec, s[0:1]
	s_waitcnt lgkmcnt(0)
	v_mov_b32_e32 v4, s10
	s_cbranch_vccz .LBB23_16
.LBB23_4:
	s_and_b64 vcc, exec, s[0:1]
	v_mov_b32_e32 v6, s11
	s_cbranch_vccnz .LBB23_6
.LBB23_5:
	v_pk_mov_b32 v[6:7], s[10:11], s[10:11] op_sel:[0,1]
	flat_load_dword v6, v[6:7] offset:4
.LBB23_6:
	s_waitcnt vmcnt(0)
	v_or_b32_e32 v2, v1, v3
	v_and_b32_e32 v2, 0x7fffffff, v2
	v_cmp_eq_u32_e32 vcc, 0, v2
	s_mov_b64 s[0:1], -1
	s_and_saveexec_b64 s[10:11], vcc
	s_cbranch_execz .LBB23_8
; %bb.7:
	s_waitcnt lgkmcnt(0)
	v_cmp_neq_f32_e32 vcc, 1.0, v4
	v_cmp_neq_f32_e64 s[0:1], 0, v6
	s_or_b64 s[0:1], vcc, s[0:1]
	s_orn2_b64 s[0:1], s[0:1], exec
.LBB23_8:
	s_or_b64 exec, exec, s[10:11]
	s_and_saveexec_b64 s[10:11], s[0:1]
	s_cbranch_execz .LBB23_33
; %bb.9:
	s_load_dwordx2 s[10:11], s[4:5], 0x18
	v_lshl_or_b32 v8, s6, 9, v0
	s_waitcnt lgkmcnt(0)
	v_cmp_gt_i32_e32 vcc, s11, v8
	s_and_b64 exec, exec, vcc
	s_cbranch_execz .LBB23_33
; %bb.10:
	s_load_dwordx2 s[0:1], s[4:5], 0x58
	v_ashrrev_i32_e32 v9, 31, v8
	v_lshlrev_b64 v[10:11], 2, v[8:9]
	s_waitcnt lgkmcnt(0)
	v_mov_b32_e32 v2, s1
	v_add_co_u32_e32 v10, vcc, s0, v10
	v_addc_co_u32_e32 v11, vcc, v2, v11, vcc
	global_load_dword v2, v[10:11], off
	s_waitcnt vmcnt(0)
	v_subrev_u32_e32 v10, s2, v2
	v_cmp_lt_i32_e32 vcc, -1, v10
	s_and_b64 exec, exec, vcc
	s_cbranch_execz .LBB23_33
; %bb.11:
	s_load_dwordx4 s[0:3], s[4:5], 0x0
	s_load_dword s11, s[4:5], 0x10
	v_sub_u32_e32 v5, 0, v8
	v_max_i32_e32 v5, v8, v5
	s_load_dwordx2 s[14:15], s[4:5], 0x30
	s_waitcnt lgkmcnt(0)
	s_cmp_eq_u32 s2, 1
	s_cselect_b64 s[6:7], -1, 0
	s_cmpk_eq_i32 s0, 0x6f
	s_cselect_b64 s[12:13], -1, 0
	s_cmpk_lg_i32 s0, 0x6f
	s_cselect_b64 s[16:17], -1, 0
	s_abs_i32 s0, s11
	v_cvt_f32_u32_e32 v2, s0
	s_sub_i32 s11, 0, s0
	s_cmp_lg_u32 s2, 1
	v_rcp_iflag_f32_e32 v2, v2
	v_mul_f32_e32 v2, 0x4f7ffffe, v2
	v_cvt_u32_f32_e32 v2, v2
	v_mul_lo_u32 v7, s11, v2
	v_mul_hi_u32 v7, v2, v7
	v_add_u32_e32 v2, v2, v7
	v_mul_hi_u32 v2, v5, v2
	v_mul_lo_u32 v2, v2, s0
	v_sub_u32_e32 v2, v5, v2
	v_subrev_u32_e32 v5, s0, v2
	v_cmp_le_u32_e32 vcc, s0, v2
	v_cndmask_b32_e32 v2, v2, v5, vcc
	v_subrev_u32_e32 v5, s0, v2
	v_cmp_le_u32_e32 vcc, s0, v2
	v_cndmask_b32_e32 v2, v2, v5, vcc
	v_xor_b32_e32 v2, v2, v9
	v_sub_u32_e32 v14, v2, v9
	v_ashrrev_i32_e32 v15, 31, v14
	s_cbranch_scc0 .LBB23_17
; %bb.12:
	s_andn2_b64 vcc, exec, s[12:13]
	v_pk_mov_b32 v[12:13], v[14:15], v[14:15] op_sel:[0,1]
	s_cbranch_vccnz .LBB23_14
; %bb.13:
	v_mul_lo_u32 v2, v15, s14
	v_mul_lo_u32 v5, v14, s15
	v_mad_u64_u32 v[12:13], s[18:19], v14, s14, 0
	v_add3_u32 v13, v13, v5, v2
.LBB23_14:
	s_cbranch_execz .LBB23_18
	s_branch .LBB23_21
.LBB23_15:
	v_pk_mov_b32 v[2:3], s[12:13], s[12:13] op_sel:[0,1]
	flat_load_dword v3, v[2:3] offset:4
	s_and_b64 vcc, exec, s[0:1]
	s_waitcnt lgkmcnt(0)
	v_mov_b32_e32 v4, s10
	s_cbranch_vccnz .LBB23_4
.LBB23_16:
	v_pk_mov_b32 v[4:5], s[10:11], s[10:11] op_sel:[0,1]
	flat_load_dword v4, v[4:5]
	s_and_b64 vcc, exec, s[0:1]
	v_mov_b32_e32 v6, s11
	s_cbranch_vccz .LBB23_5
	s_branch .LBB23_6
.LBB23_17:
                                        ; implicit-def: $vgpr12_vgpr13
.LBB23_18:
	s_andn2_b64 vcc, exec, s[16:17]
	s_cbranch_vccnz .LBB23_20
; %bb.19:
	v_mul_lo_u32 v2, v15, s14
	v_mul_lo_u32 v5, v14, s15
	v_mad_u64_u32 v[14:15], s[16:17], v14, s14, 0
	v_add3_u32 v15, v15, v5, v2
.LBB23_20:
	v_pk_mov_b32 v[12:13], v[14:15], v[14:15] op_sel:[0,1]
.LBB23_21:
	s_cmp_eq_u32 s3, 1
	s_cselect_b64 s[16:17], -1, 0
	s_cmpk_eq_i32 s1, 0x6f
	s_cselect_b64 s[18:19], -1, 0
	s_cmpk_lg_i32 s1, 0x6f
	s_cselect_b64 s[0:1], -1, 0
	s_cmp_lg_u32 s3, 1
	v_mov_b32_e32 v11, 0
	s_cbranch_scc0 .LBB23_25
; %bb.22:
	s_andn2_b64 vcc, exec, s[0:1]
	v_pk_mov_b32 v[14:15], v[10:11], v[10:11] op_sel:[0,1]
	s_cbranch_vccnz .LBB23_24
; %bb.23:
	v_mad_u64_u32 v[14:15], s[0:1], v10, s8, 0
	v_mov_b32_e32 v2, v15
	v_mad_u64_u32 v[16:17], s[0:1], v10, s9, v[2:3]
	v_mov_b32_e32 v15, v16
.LBB23_24:
	s_cbranch_execz .LBB23_26
	s_branch .LBB23_29
.LBB23_25:
                                        ; implicit-def: $vgpr14_vgpr15
.LBB23_26:
	s_andn2_b64 vcc, exec, s[18:19]
	s_cbranch_vccnz .LBB23_28
; %bb.27:
	v_mad_u64_u32 v[14:15], s[0:1], v10, s8, 0
	v_mov_b32_e32 v2, v15
	v_mad_u64_u32 v[10:11], s[0:1], v10, s9, v[2:3]
	v_mov_b32_e32 v15, v10
	v_pk_mov_b32 v[10:11], v[14:15], v[14:15] op_sel:[0,1]
.LBB23_28:
	v_pk_mov_b32 v[14:15], v[10:11], v[10:11] op_sel:[0,1]
.LBB23_29:
	s_load_dwordx2 s[0:1], s[4:5], 0x50
	v_mov_b32_e32 v17, 0
	s_cmp_lt_i32 s10, 1
	v_mov_b32_e32 v16, v17
	s_cbranch_scc1 .LBB23_32
; %bb.30:
	s_load_dwordx2 s[2:3], s[4:5], 0x28
	s_load_dwordx2 s[20:21], s[4:5], 0x38
	v_lshlrev_b64 v[10:11], 3, v[12:13]
	v_lshlrev_b64 v[12:13], 3, v[14:15]
	v_mov_b32_e32 v16, 0
	s_waitcnt lgkmcnt(0)
	v_mov_b32_e32 v2, s3
	v_add_co_u32_e32 v10, vcc, s2, v10
	s_xor_b64 s[2:3], s[12:13], s[6:7]
	s_and_b64 s[2:3], s[2:3], exec
	v_addc_co_u32_e32 v11, vcc, v2, v11, vcc
	s_cselect_b32 s3, 0, s15
	s_cselect_b32 s2, 1, s14
	s_xor_b64 s[4:5], s[18:19], s[16:17]
	s_and_b64 s[4:5], s[4:5], exec
	v_mov_b32_e32 v2, s21
	v_add_co_u32_e32 v5, vcc, s20, v12
	s_cselect_b32 s5, s9, 0
	s_cselect_b32 s4, s8, 1
	v_addc_co_u32_e32 v2, vcc, v13, v2, vcc
	s_lshl_b64 s[2:3], s[2:3], 3
	v_add_co_u32_e32 v12, vcc, 4, v5
	s_lshl_b64 s[4:5], s[4:5], 3
	v_addc_co_u32_e32 v13, vcc, 0, v2, vcc
	v_mov_b32_e32 v2, s3
	v_mov_b32_e32 v5, s5
	;; [unrolled: 1-line block ×3, first 2 shown]
.LBB23_31:                              ; =>This Inner Loop Header: Depth=1
	global_load_dwordx2 v[14:15], v[10:11], off
	global_load_dwordx2 v[18:19], v[12:13], off offset:-4
	v_add_co_u32_e32 v10, vcc, s2, v10
	v_addc_co_u32_e32 v11, vcc, v11, v2, vcc
	s_add_i32 s10, s10, -1
	v_add_co_u32_e32 v12, vcc, s4, v12
	v_addc_co_u32_e32 v13, vcc, v13, v5, vcc
	s_cmp_eq_u32 s10, 0
	s_waitcnt vmcnt(0)
	v_pk_mul_f32 v[20:21], v[18:19], v[14:15] op_sel:[1,1] op_sel_hi:[1,0] neg_lo:[0,1]
	v_pk_fma_f32 v[14:15], v[14:15], v[18:19], v[20:21] op_sel_hi:[1,0,1]
	v_pk_add_f32 v[16:17], v[16:17], v[14:15]
	s_cbranch_scc0 .LBB23_31
.LBB23_32:
	v_lshlrev_b64 v[8:9], 3, v[8:9]
	s_waitcnt lgkmcnt(0)
	v_mov_b32_e32 v2, s1
	v_add_co_u32_e32 v8, vcc, s0, v8
	v_lshlrev_b32_e32 v0, 3, v0
	v_addc_co_u32_e32 v9, vcc, v2, v9, vcc
	ds_write_b64 v0, v[16:17]
	s_waitcnt lgkmcnt(0)
	s_barrier
	global_load_dwordx2 v[10:11], v[8:9], off
	ds_read_b64 v[12:13], v0
	v_xor_b32_e32 v15, 0x80000000, v3
	s_waitcnt lgkmcnt(0)
	v_mov_b32_e32 v7, v13
	v_mov_b32_e32 v5, v12
	s_waitcnt vmcnt(0)
	v_mov_b32_e32 v14, v10
	v_mov_b32_e32 v0, v11
	v_pk_mul_f32 v[12:13], v[6:7], v[14:15]
	v_pk_fma_f32 v[12:13], v[0:1], v[4:5], v[12:13]
	v_xor_b32_e32 v0, 0x80000000, v11
	v_mov_b32_e32 v2, v10
	v_pk_mul_f32 v[0:1], v[6:7], v[0:1]
	v_pk_fma_f32 v[0:1], v[2:3], v[4:5], v[0:1]
	v_pk_add_f32 v[0:1], v[12:13], v[0:1] op_sel:[0,1] op_sel_hi:[1,0]
	v_mov_b32_e32 v2, v1
	v_mov_b32_e32 v3, v0
	global_store_dwordx2 v[8:9], v[2:3], off
.LBB23_33:
	s_endpgm
	.section	.rodata,"a",@progbits
	.p2align	6, 0x0
	.amdhsa_kernel _ZN9rocsparseL16sddmm_ell_kernelILi512ELi1E21rocsparse_complex_numIfEiiS2_S2_S2_EEv20rocsparse_operation_S3_16rocsparse_order_S4_T3_S5_S5_T2_NS_24const_host_device_scalarIT1_EEPKT4_lPKT5_lS9_PT6_PKS5_21rocsparse_index_base_b
		.amdhsa_group_segment_fixed_size 4096
		.amdhsa_private_segment_fixed_size 0
		.amdhsa_kernarg_size 104
		.amdhsa_user_sgpr_count 6
		.amdhsa_user_sgpr_private_segment_buffer 1
		.amdhsa_user_sgpr_dispatch_ptr 0
		.amdhsa_user_sgpr_queue_ptr 0
		.amdhsa_user_sgpr_kernarg_segment_ptr 1
		.amdhsa_user_sgpr_dispatch_id 0
		.amdhsa_user_sgpr_flat_scratch_init 0
		.amdhsa_user_sgpr_kernarg_preload_length 0
		.amdhsa_user_sgpr_kernarg_preload_offset 0
		.amdhsa_user_sgpr_private_segment_size 0
		.amdhsa_uses_dynamic_stack 0
		.amdhsa_system_sgpr_private_segment_wavefront_offset 0
		.amdhsa_system_sgpr_workgroup_id_x 1
		.amdhsa_system_sgpr_workgroup_id_y 0
		.amdhsa_system_sgpr_workgroup_id_z 0
		.amdhsa_system_sgpr_workgroup_info 0
		.amdhsa_system_vgpr_workitem_id 0
		.amdhsa_next_free_vgpr 22
		.amdhsa_next_free_sgpr 22
		.amdhsa_accum_offset 24
		.amdhsa_reserve_vcc 1
		.amdhsa_reserve_flat_scratch 0
		.amdhsa_float_round_mode_32 0
		.amdhsa_float_round_mode_16_64 0
		.amdhsa_float_denorm_mode_32 3
		.amdhsa_float_denorm_mode_16_64 3
		.amdhsa_dx10_clamp 1
		.amdhsa_ieee_mode 1
		.amdhsa_fp16_overflow 0
		.amdhsa_tg_split 0
		.amdhsa_exception_fp_ieee_invalid_op 0
		.amdhsa_exception_fp_denorm_src 0
		.amdhsa_exception_fp_ieee_div_zero 0
		.amdhsa_exception_fp_ieee_overflow 0
		.amdhsa_exception_fp_ieee_underflow 0
		.amdhsa_exception_fp_ieee_inexact 0
		.amdhsa_exception_int_div_zero 0
	.end_amdhsa_kernel
	.section	.text._ZN9rocsparseL16sddmm_ell_kernelILi512ELi1E21rocsparse_complex_numIfEiiS2_S2_S2_EEv20rocsparse_operation_S3_16rocsparse_order_S4_T3_S5_S5_T2_NS_24const_host_device_scalarIT1_EEPKT4_lPKT5_lS9_PT6_PKS5_21rocsparse_index_base_b,"axG",@progbits,_ZN9rocsparseL16sddmm_ell_kernelILi512ELi1E21rocsparse_complex_numIfEiiS2_S2_S2_EEv20rocsparse_operation_S3_16rocsparse_order_S4_T3_S5_S5_T2_NS_24const_host_device_scalarIT1_EEPKT4_lPKT5_lS9_PT6_PKS5_21rocsparse_index_base_b,comdat
.Lfunc_end23:
	.size	_ZN9rocsparseL16sddmm_ell_kernelILi512ELi1E21rocsparse_complex_numIfEiiS2_S2_S2_EEv20rocsparse_operation_S3_16rocsparse_order_S4_T3_S5_S5_T2_NS_24const_host_device_scalarIT1_EEPKT4_lPKT5_lS9_PT6_PKS5_21rocsparse_index_base_b, .Lfunc_end23-_ZN9rocsparseL16sddmm_ell_kernelILi512ELi1E21rocsparse_complex_numIfEiiS2_S2_S2_EEv20rocsparse_operation_S3_16rocsparse_order_S4_T3_S5_S5_T2_NS_24const_host_device_scalarIT1_EEPKT4_lPKT5_lS9_PT6_PKS5_21rocsparse_index_base_b
                                        ; -- End function
	.section	.AMDGPU.csdata,"",@progbits
; Kernel info:
; codeLenInByte = 1160
; NumSgprs: 26
; NumVgprs: 22
; NumAgprs: 0
; TotalNumVgprs: 22
; ScratchSize: 0
; MemoryBound: 0
; FloatMode: 240
; IeeeMode: 1
; LDSByteSize: 4096 bytes/workgroup (compile time only)
; SGPRBlocks: 3
; VGPRBlocks: 2
; NumSGPRsForWavesPerEU: 26
; NumVGPRsForWavesPerEU: 22
; AccumOffset: 24
; Occupancy: 8
; WaveLimiterHint : 0
; COMPUTE_PGM_RSRC2:SCRATCH_EN: 0
; COMPUTE_PGM_RSRC2:USER_SGPR: 6
; COMPUTE_PGM_RSRC2:TRAP_HANDLER: 0
; COMPUTE_PGM_RSRC2:TGID_X_EN: 1
; COMPUTE_PGM_RSRC2:TGID_Y_EN: 0
; COMPUTE_PGM_RSRC2:TGID_Z_EN: 0
; COMPUTE_PGM_RSRC2:TIDIG_COMP_CNT: 0
; COMPUTE_PGM_RSRC3_GFX90A:ACCUM_OFFSET: 5
; COMPUTE_PGM_RSRC3_GFX90A:TG_SPLIT: 0
	.section	.text._ZN9rocsparseL23sddmm_ell_sample_kernelILi16ELi32E21rocsparse_complex_numIdEiS2_EEvT2_S3_PKT3_lS3_PS4_PKS3_21rocsparse_index_base_,"axG",@progbits,_ZN9rocsparseL23sddmm_ell_sample_kernelILi16ELi32E21rocsparse_complex_numIdEiS2_EEvT2_S3_PKT3_lS3_PS4_PKS3_21rocsparse_index_base_,comdat
	.globl	_ZN9rocsparseL23sddmm_ell_sample_kernelILi16ELi32E21rocsparse_complex_numIdEiS2_EEvT2_S3_PKT3_lS3_PS4_PKS3_21rocsparse_index_base_ ; -- Begin function _ZN9rocsparseL23sddmm_ell_sample_kernelILi16ELi32E21rocsparse_complex_numIdEiS2_EEvT2_S3_PKT3_lS3_PS4_PKS3_21rocsparse_index_base_
	.p2align	8
	.type	_ZN9rocsparseL23sddmm_ell_sample_kernelILi16ELi32E21rocsparse_complex_numIdEiS2_EEvT2_S3_PKT3_lS3_PS4_PKS3_21rocsparse_index_base_,@function
_ZN9rocsparseL23sddmm_ell_sample_kernelILi16ELi32E21rocsparse_complex_numIdEiS2_EEvT2_S3_PKT3_lS3_PS4_PKS3_21rocsparse_index_base_: ; @_ZN9rocsparseL23sddmm_ell_sample_kernelILi16ELi32E21rocsparse_complex_numIdEiS2_EEvT2_S3_PKT3_lS3_PS4_PKS3_21rocsparse_index_base_
; %bb.0:
	s_load_dword s0, s[4:5], 0x18
	v_lshrrev_b32_e32 v1, 5, v0
	v_lshl_or_b32 v1, s6, 4, v1
	s_waitcnt lgkmcnt(0)
	v_cmp_gt_u32_e32 vcc, s0, v1
	s_and_saveexec_b64 s[0:1], vcc
	s_cbranch_execz .LBB24_6
; %bb.1:
	s_load_dwordx2 s[2:3], s[4:5], 0x0
	v_and_b32_e32 v4, 31, v0
	s_waitcnt lgkmcnt(0)
	v_cmp_gt_i32_e32 vcc, s2, v4
	s_and_b64 exec, exec, vcc
	s_cbranch_execz .LBB24_6
; %bb.2:
	s_load_dwordx4 s[16:19], s[4:5], 0x8
	s_load_dwordx4 s[8:11], s[4:5], 0x20
	s_load_dword s12, s[4:5], 0x30
	v_and_b32_e32 v0, 31, v0
	v_lshlrev_b32_e32 v0, 4, v0
	s_waitcnt lgkmcnt(0)
	v_mov_b32_e32 v3, s17
	v_add_co_u32_e32 v2, vcc, s16, v0
	v_mul_lo_u32 v5, v1, s2
	s_lshl_b64 s[4:5], s[18:19], 4
	v_mov_b32_e32 v1, 0
	v_addc_co_u32_e32 v3, vcc, 0, v3, vcc
	s_mov_b64 s[6:7], 0
	v_mov_b32_e32 v6, s11
	s_branch .LBB24_4
.LBB24_3:                               ;   in Loop: Header=BB24_4 Depth=1
	s_or_b64 exec, exec, s[0:1]
	v_add_u32_e32 v4, 32, v4
	v_add_co_u32_e32 v2, vcc, 0x200, v2
	v_cmp_le_i32_e64 s[0:1], s2, v4
	s_or_b64 s[6:7], s[0:1], s[6:7]
	v_addc_co_u32_e32 v3, vcc, 0, v3, vcc
	s_andn2_b64 exec, exec, s[6:7]
	s_cbranch_execz .LBB24_6
.LBB24_4:                               ; =>This Inner Loop Header: Depth=1
	v_add_u32_e32 v0, v5, v4
	v_lshlrev_b64 v[8:9], 2, v[0:1]
	v_add_co_u32_e32 v8, vcc, s10, v8
	v_addc_co_u32_e32 v9, vcc, v6, v9, vcc
	global_load_dword v7, v[8:9], off
	s_waitcnt vmcnt(0)
	v_subrev_u32_e32 v7, s12, v7
	v_cmp_lt_i32_e32 vcc, -1, v7
	v_cmp_gt_i32_e64 s[0:1], s3, v7
	s_and_b64 s[14:15], vcc, s[0:1]
	s_and_saveexec_b64 s[0:1], s[14:15]
	s_cbranch_execz .LBB24_3
; %bb.5:                                ;   in Loop: Header=BB24_4 Depth=1
	v_mad_u64_u32 v[8:9], s[14:15], s4, v7, v[2:3]
	v_mov_b32_e32 v10, v9
	v_mad_u64_u32 v[10:11], s[14:15], s5, v7, v[10:11]
	v_mov_b32_e32 v9, v10
	global_load_dwordx4 v[8:11], v[8:9], off
	v_lshlrev_b64 v[12:13], 4, v[0:1]
	v_mov_b32_e32 v0, s9
	v_add_co_u32_e32 v12, vcc, s8, v12
	v_addc_co_u32_e32 v13, vcc, v0, v13, vcc
	s_waitcnt vmcnt(0)
	global_store_dwordx4 v[12:13], v[8:11], off
	s_branch .LBB24_3
.LBB24_6:
	s_endpgm
	.section	.rodata,"a",@progbits
	.p2align	6, 0x0
	.amdhsa_kernel _ZN9rocsparseL23sddmm_ell_sample_kernelILi16ELi32E21rocsparse_complex_numIdEiS2_EEvT2_S3_PKT3_lS3_PS4_PKS3_21rocsparse_index_base_
		.amdhsa_group_segment_fixed_size 0
		.amdhsa_private_segment_fixed_size 0
		.amdhsa_kernarg_size 52
		.amdhsa_user_sgpr_count 6
		.amdhsa_user_sgpr_private_segment_buffer 1
		.amdhsa_user_sgpr_dispatch_ptr 0
		.amdhsa_user_sgpr_queue_ptr 0
		.amdhsa_user_sgpr_kernarg_segment_ptr 1
		.amdhsa_user_sgpr_dispatch_id 0
		.amdhsa_user_sgpr_flat_scratch_init 0
		.amdhsa_user_sgpr_kernarg_preload_length 0
		.amdhsa_user_sgpr_kernarg_preload_offset 0
		.amdhsa_user_sgpr_private_segment_size 0
		.amdhsa_uses_dynamic_stack 0
		.amdhsa_system_sgpr_private_segment_wavefront_offset 0
		.amdhsa_system_sgpr_workgroup_id_x 1
		.amdhsa_system_sgpr_workgroup_id_y 0
		.amdhsa_system_sgpr_workgroup_id_z 0
		.amdhsa_system_sgpr_workgroup_info 0
		.amdhsa_system_vgpr_workitem_id 0
		.amdhsa_next_free_vgpr 14
		.amdhsa_next_free_sgpr 20
		.amdhsa_accum_offset 16
		.amdhsa_reserve_vcc 1
		.amdhsa_reserve_flat_scratch 0
		.amdhsa_float_round_mode_32 0
		.amdhsa_float_round_mode_16_64 0
		.amdhsa_float_denorm_mode_32 3
		.amdhsa_float_denorm_mode_16_64 3
		.amdhsa_dx10_clamp 1
		.amdhsa_ieee_mode 1
		.amdhsa_fp16_overflow 0
		.amdhsa_tg_split 0
		.amdhsa_exception_fp_ieee_invalid_op 0
		.amdhsa_exception_fp_denorm_src 0
		.amdhsa_exception_fp_ieee_div_zero 0
		.amdhsa_exception_fp_ieee_overflow 0
		.amdhsa_exception_fp_ieee_underflow 0
		.amdhsa_exception_fp_ieee_inexact 0
		.amdhsa_exception_int_div_zero 0
	.end_amdhsa_kernel
	.section	.text._ZN9rocsparseL23sddmm_ell_sample_kernelILi16ELi32E21rocsparse_complex_numIdEiS2_EEvT2_S3_PKT3_lS3_PS4_PKS3_21rocsparse_index_base_,"axG",@progbits,_ZN9rocsparseL23sddmm_ell_sample_kernelILi16ELi32E21rocsparse_complex_numIdEiS2_EEvT2_S3_PKT3_lS3_PS4_PKS3_21rocsparse_index_base_,comdat
.Lfunc_end24:
	.size	_ZN9rocsparseL23sddmm_ell_sample_kernelILi16ELi32E21rocsparse_complex_numIdEiS2_EEvT2_S3_PKT3_lS3_PS4_PKS3_21rocsparse_index_base_, .Lfunc_end24-_ZN9rocsparseL23sddmm_ell_sample_kernelILi16ELi32E21rocsparse_complex_numIdEiS2_EEvT2_S3_PKT3_lS3_PS4_PKS3_21rocsparse_index_base_
                                        ; -- End function
	.section	.AMDGPU.csdata,"",@progbits
; Kernel info:
; codeLenInByte = 312
; NumSgprs: 24
; NumVgprs: 14
; NumAgprs: 0
; TotalNumVgprs: 14
; ScratchSize: 0
; MemoryBound: 0
; FloatMode: 240
; IeeeMode: 1
; LDSByteSize: 0 bytes/workgroup (compile time only)
; SGPRBlocks: 2
; VGPRBlocks: 1
; NumSGPRsForWavesPerEU: 24
; NumVGPRsForWavesPerEU: 14
; AccumOffset: 16
; Occupancy: 8
; WaveLimiterHint : 0
; COMPUTE_PGM_RSRC2:SCRATCH_EN: 0
; COMPUTE_PGM_RSRC2:USER_SGPR: 6
; COMPUTE_PGM_RSRC2:TRAP_HANDLER: 0
; COMPUTE_PGM_RSRC2:TGID_X_EN: 1
; COMPUTE_PGM_RSRC2:TGID_Y_EN: 0
; COMPUTE_PGM_RSRC2:TGID_Z_EN: 0
; COMPUTE_PGM_RSRC2:TIDIG_COMP_CNT: 0
; COMPUTE_PGM_RSRC3_GFX90A:ACCUM_OFFSET: 3
; COMPUTE_PGM_RSRC3_GFX90A:TG_SPLIT: 0
	.section	.text._ZN9rocsparseL23sddmm_ell_sample_kernelILi16ELi64E21rocsparse_complex_numIdEiS2_EEvT2_S3_PKT3_lS3_PS4_PKS3_21rocsparse_index_base_,"axG",@progbits,_ZN9rocsparseL23sddmm_ell_sample_kernelILi16ELi64E21rocsparse_complex_numIdEiS2_EEvT2_S3_PKT3_lS3_PS4_PKS3_21rocsparse_index_base_,comdat
	.globl	_ZN9rocsparseL23sddmm_ell_sample_kernelILi16ELi64E21rocsparse_complex_numIdEiS2_EEvT2_S3_PKT3_lS3_PS4_PKS3_21rocsparse_index_base_ ; -- Begin function _ZN9rocsparseL23sddmm_ell_sample_kernelILi16ELi64E21rocsparse_complex_numIdEiS2_EEvT2_S3_PKT3_lS3_PS4_PKS3_21rocsparse_index_base_
	.p2align	8
	.type	_ZN9rocsparseL23sddmm_ell_sample_kernelILi16ELi64E21rocsparse_complex_numIdEiS2_EEvT2_S3_PKT3_lS3_PS4_PKS3_21rocsparse_index_base_,@function
_ZN9rocsparseL23sddmm_ell_sample_kernelILi16ELi64E21rocsparse_complex_numIdEiS2_EEvT2_S3_PKT3_lS3_PS4_PKS3_21rocsparse_index_base_: ; @_ZN9rocsparseL23sddmm_ell_sample_kernelILi16ELi64E21rocsparse_complex_numIdEiS2_EEvT2_S3_PKT3_lS3_PS4_PKS3_21rocsparse_index_base_
; %bb.0:
	s_load_dword s0, s[4:5], 0x18
	v_lshrrev_b32_e32 v1, 6, v0
	v_lshl_or_b32 v1, s6, 4, v1
	s_waitcnt lgkmcnt(0)
	v_cmp_gt_u32_e32 vcc, s0, v1
	s_and_saveexec_b64 s[0:1], vcc
	s_cbranch_execz .LBB25_6
; %bb.1:
	s_load_dwordx2 s[2:3], s[4:5], 0x0
	v_and_b32_e32 v4, 63, v0
	s_waitcnt lgkmcnt(0)
	v_cmp_gt_i32_e32 vcc, s2, v4
	s_and_b64 exec, exec, vcc
	s_cbranch_execz .LBB25_6
; %bb.2:
	s_load_dwordx4 s[16:19], s[4:5], 0x8
	s_load_dwordx4 s[8:11], s[4:5], 0x20
	s_load_dword s12, s[4:5], 0x30
	v_and_b32_e32 v0, 63, v0
	v_lshlrev_b32_e32 v0, 4, v0
	s_waitcnt lgkmcnt(0)
	v_mov_b32_e32 v3, s17
	v_add_co_u32_e32 v2, vcc, s16, v0
	v_mul_lo_u32 v5, v1, s2
	s_lshl_b64 s[4:5], s[18:19], 4
	v_mov_b32_e32 v1, 0
	v_addc_co_u32_e32 v3, vcc, 0, v3, vcc
	s_mov_b64 s[6:7], 0
	v_mov_b32_e32 v6, s11
	s_branch .LBB25_4
.LBB25_3:                               ;   in Loop: Header=BB25_4 Depth=1
	s_or_b64 exec, exec, s[0:1]
	v_add_u32_e32 v4, 64, v4
	v_add_co_u32_e32 v2, vcc, 0x400, v2
	v_cmp_le_i32_e64 s[0:1], s2, v4
	s_or_b64 s[6:7], s[0:1], s[6:7]
	v_addc_co_u32_e32 v3, vcc, 0, v3, vcc
	s_andn2_b64 exec, exec, s[6:7]
	s_cbranch_execz .LBB25_6
.LBB25_4:                               ; =>This Inner Loop Header: Depth=1
	v_add_u32_e32 v0, v5, v4
	v_lshlrev_b64 v[8:9], 2, v[0:1]
	v_add_co_u32_e32 v8, vcc, s10, v8
	v_addc_co_u32_e32 v9, vcc, v6, v9, vcc
	global_load_dword v7, v[8:9], off
	s_waitcnt vmcnt(0)
	v_subrev_u32_e32 v7, s12, v7
	v_cmp_lt_i32_e32 vcc, -1, v7
	v_cmp_gt_i32_e64 s[0:1], s3, v7
	s_and_b64 s[14:15], vcc, s[0:1]
	s_and_saveexec_b64 s[0:1], s[14:15]
	s_cbranch_execz .LBB25_3
; %bb.5:                                ;   in Loop: Header=BB25_4 Depth=1
	v_mad_u64_u32 v[8:9], s[14:15], s4, v7, v[2:3]
	v_mov_b32_e32 v10, v9
	v_mad_u64_u32 v[10:11], s[14:15], s5, v7, v[10:11]
	v_mov_b32_e32 v9, v10
	global_load_dwordx4 v[8:11], v[8:9], off
	v_lshlrev_b64 v[12:13], 4, v[0:1]
	v_mov_b32_e32 v0, s9
	v_add_co_u32_e32 v12, vcc, s8, v12
	v_addc_co_u32_e32 v13, vcc, v0, v13, vcc
	s_waitcnt vmcnt(0)
	global_store_dwordx4 v[12:13], v[8:11], off
	s_branch .LBB25_3
.LBB25_6:
	s_endpgm
	.section	.rodata,"a",@progbits
	.p2align	6, 0x0
	.amdhsa_kernel _ZN9rocsparseL23sddmm_ell_sample_kernelILi16ELi64E21rocsparse_complex_numIdEiS2_EEvT2_S3_PKT3_lS3_PS4_PKS3_21rocsparse_index_base_
		.amdhsa_group_segment_fixed_size 0
		.amdhsa_private_segment_fixed_size 0
		.amdhsa_kernarg_size 52
		.amdhsa_user_sgpr_count 6
		.amdhsa_user_sgpr_private_segment_buffer 1
		.amdhsa_user_sgpr_dispatch_ptr 0
		.amdhsa_user_sgpr_queue_ptr 0
		.amdhsa_user_sgpr_kernarg_segment_ptr 1
		.amdhsa_user_sgpr_dispatch_id 0
		.amdhsa_user_sgpr_flat_scratch_init 0
		.amdhsa_user_sgpr_kernarg_preload_length 0
		.amdhsa_user_sgpr_kernarg_preload_offset 0
		.amdhsa_user_sgpr_private_segment_size 0
		.amdhsa_uses_dynamic_stack 0
		.amdhsa_system_sgpr_private_segment_wavefront_offset 0
		.amdhsa_system_sgpr_workgroup_id_x 1
		.amdhsa_system_sgpr_workgroup_id_y 0
		.amdhsa_system_sgpr_workgroup_id_z 0
		.amdhsa_system_sgpr_workgroup_info 0
		.amdhsa_system_vgpr_workitem_id 0
		.amdhsa_next_free_vgpr 14
		.amdhsa_next_free_sgpr 20
		.amdhsa_accum_offset 16
		.amdhsa_reserve_vcc 1
		.amdhsa_reserve_flat_scratch 0
		.amdhsa_float_round_mode_32 0
		.amdhsa_float_round_mode_16_64 0
		.amdhsa_float_denorm_mode_32 3
		.amdhsa_float_denorm_mode_16_64 3
		.amdhsa_dx10_clamp 1
		.amdhsa_ieee_mode 1
		.amdhsa_fp16_overflow 0
		.amdhsa_tg_split 0
		.amdhsa_exception_fp_ieee_invalid_op 0
		.amdhsa_exception_fp_denorm_src 0
		.amdhsa_exception_fp_ieee_div_zero 0
		.amdhsa_exception_fp_ieee_overflow 0
		.amdhsa_exception_fp_ieee_underflow 0
		.amdhsa_exception_fp_ieee_inexact 0
		.amdhsa_exception_int_div_zero 0
	.end_amdhsa_kernel
	.section	.text._ZN9rocsparseL23sddmm_ell_sample_kernelILi16ELi64E21rocsparse_complex_numIdEiS2_EEvT2_S3_PKT3_lS3_PS4_PKS3_21rocsparse_index_base_,"axG",@progbits,_ZN9rocsparseL23sddmm_ell_sample_kernelILi16ELi64E21rocsparse_complex_numIdEiS2_EEvT2_S3_PKT3_lS3_PS4_PKS3_21rocsparse_index_base_,comdat
.Lfunc_end25:
	.size	_ZN9rocsparseL23sddmm_ell_sample_kernelILi16ELi64E21rocsparse_complex_numIdEiS2_EEvT2_S3_PKT3_lS3_PS4_PKS3_21rocsparse_index_base_, .Lfunc_end25-_ZN9rocsparseL23sddmm_ell_sample_kernelILi16ELi64E21rocsparse_complex_numIdEiS2_EEvT2_S3_PKT3_lS3_PS4_PKS3_21rocsparse_index_base_
                                        ; -- End function
	.section	.AMDGPU.csdata,"",@progbits
; Kernel info:
; codeLenInByte = 312
; NumSgprs: 24
; NumVgprs: 14
; NumAgprs: 0
; TotalNumVgprs: 14
; ScratchSize: 0
; MemoryBound: 0
; FloatMode: 240
; IeeeMode: 1
; LDSByteSize: 0 bytes/workgroup (compile time only)
; SGPRBlocks: 2
; VGPRBlocks: 1
; NumSGPRsForWavesPerEU: 24
; NumVGPRsForWavesPerEU: 14
; AccumOffset: 16
; Occupancy: 8
; WaveLimiterHint : 0
; COMPUTE_PGM_RSRC2:SCRATCH_EN: 0
; COMPUTE_PGM_RSRC2:USER_SGPR: 6
; COMPUTE_PGM_RSRC2:TRAP_HANDLER: 0
; COMPUTE_PGM_RSRC2:TGID_X_EN: 1
; COMPUTE_PGM_RSRC2:TGID_Y_EN: 0
; COMPUTE_PGM_RSRC2:TGID_Z_EN: 0
; COMPUTE_PGM_RSRC2:TIDIG_COMP_CNT: 0
; COMPUTE_PGM_RSRC3_GFX90A:ACCUM_OFFSET: 3
; COMPUTE_PGM_RSRC3_GFX90A:TG_SPLIT: 0
	.section	.text._ZN9rocsparseL16sddmm_ell_kernelILi512ELi8E21rocsparse_complex_numIdEiiS2_S2_S2_EEv20rocsparse_operation_S3_16rocsparse_order_S4_T3_S5_S5_T2_NS_24const_host_device_scalarIT1_EEPKT4_lPKT5_lS9_PT6_PKS5_21rocsparse_index_base_b,"axG",@progbits,_ZN9rocsparseL16sddmm_ell_kernelILi512ELi8E21rocsparse_complex_numIdEiiS2_S2_S2_EEv20rocsparse_operation_S3_16rocsparse_order_S4_T3_S5_S5_T2_NS_24const_host_device_scalarIT1_EEPKT4_lPKT5_lS9_PT6_PKS5_21rocsparse_index_base_b,comdat
	.globl	_ZN9rocsparseL16sddmm_ell_kernelILi512ELi8E21rocsparse_complex_numIdEiiS2_S2_S2_EEv20rocsparse_operation_S3_16rocsparse_order_S4_T3_S5_S5_T2_NS_24const_host_device_scalarIT1_EEPKT4_lPKT5_lS9_PT6_PKS5_21rocsparse_index_base_b ; -- Begin function _ZN9rocsparseL16sddmm_ell_kernelILi512ELi8E21rocsparse_complex_numIdEiiS2_S2_S2_EEv20rocsparse_operation_S3_16rocsparse_order_S4_T3_S5_S5_T2_NS_24const_host_device_scalarIT1_EEPKT4_lPKT5_lS9_PT6_PKS5_21rocsparse_index_base_b
	.p2align	8
	.type	_ZN9rocsparseL16sddmm_ell_kernelILi512ELi8E21rocsparse_complex_numIdEiiS2_S2_S2_EEv20rocsparse_operation_S3_16rocsparse_order_S4_T3_S5_S5_T2_NS_24const_host_device_scalarIT1_EEPKT4_lPKT5_lS9_PT6_PKS5_21rocsparse_index_base_b,@function
_ZN9rocsparseL16sddmm_ell_kernelILi512ELi8E21rocsparse_complex_numIdEiiS2_S2_S2_EEv20rocsparse_operation_S3_16rocsparse_order_S4_T3_S5_S5_T2_NS_24const_host_device_scalarIT1_EEPKT4_lPKT5_lS9_PT6_PKS5_21rocsparse_index_base_b: ; @_ZN9rocsparseL16sddmm_ell_kernelILi512ELi8E21rocsparse_complex_numIdEiiS2_S2_S2_EEv20rocsparse_operation_S3_16rocsparse_order_S4_T3_S5_S5_T2_NS_24const_host_device_scalarIT1_EEPKT4_lPKT5_lS9_PT6_PKS5_21rocsparse_index_base_b
; %bb.0:
	s_load_dwordx2 s[2:3], s[6:7], 0x70
	s_load_dwordx4 s[16:19], s[6:7], 0x20
	s_load_dwordx4 s[12:15], s[6:7], 0x48
	s_mov_b64 s[10:11], src_shared_base
	s_load_dwordx2 s[4:5], s[4:5], 0x4
	s_waitcnt lgkmcnt(0)
	s_bitcmp1_b32 s3, 0
	s_cselect_b64 s[0:1], -1, 0
	s_and_b64 vcc, s[0:1], exec
	s_cselect_b32 s3, s11, s17
	s_lshr_b32 s4, s4, 16
	v_and_b32_e32 v19, 0x3ff, v0
	s_mul_i32 s4, s4, s5
	v_mul_lo_u32 v1, s4, v19
	v_bfe_u32 v2, v0, 10, 10
	v_mad_u32_u24 v1, v2, s5, v1
	v_bfe_u32 v0, v0, 20, 10
	v_add_lshl_u32 v6, v1, v0, 3
	v_mov_b32_e32 v4, s16
	v_add_u32_e32 v5, 0x3000, v6
	v_pk_mov_b32 v[0:1], s[16:17], s[16:17] op_sel:[0,1]
	v_pk_mov_b32 v[2:3], s[14:15], s[14:15] op_sel:[0,1]
	ds_write2st64_b64 v6, v[2:3], v[0:1] offset0:16 offset1:24
	v_cndmask_b32_e64 v0, v4, v5, s[0:1]
	v_mov_b32_e32 v1, s3
	flat_load_dwordx2 v[4:5], v[0:1]
	s_load_dwordx2 s[4:5], s[6:7], 0x58
	s_xor_b64 s[20:21], s[0:1], -1
	v_add_u32_e32 v0, 0x2000, v6
	v_pk_mov_b32 v[6:7], s[18:19], s[18:19] op_sel:[0,1]
	s_cbranch_vccnz .LBB26_2
; %bb.1:
	v_pk_mov_b32 v[2:3], s[16:17], s[16:17] op_sel:[0,1]
	flat_load_dwordx2 v[6:7], v[2:3] offset:8
.LBB26_2:
	s_and_b64 s[16:17], s[0:1], exec
	s_cselect_b32 s3, s11, s15
	v_mov_b32_e32 v1, s14
	v_cndmask_b32_e64 v0, v1, v0, s[0:1]
	v_mov_b32_e32 v1, s3
	flat_load_dwordx2 v[8:9], v[0:1]
	s_andn2_b64 vcc, exec, s[20:21]
	s_waitcnt lgkmcnt(0)
	v_pk_mov_b32 v[10:11], s[4:5], s[4:5] op_sel:[0,1]
	s_cbranch_vccnz .LBB26_4
; %bb.3:
	v_pk_mov_b32 v[0:1], s[14:15], s[14:15] op_sel:[0,1]
	flat_load_dwordx2 v[10:11], v[0:1] offset:8
.LBB26_4:
	s_waitcnt vmcnt(0)
	v_cmp_eq_f64_e32 vcc, 0, v[4:5]
	v_cmp_eq_f64_e64 s[0:1], 0, v[6:7]
	s_and_b64 s[10:11], vcc, s[0:1]
	s_mov_b64 s[0:1], -1
	s_and_saveexec_b64 s[4:5], s[10:11]
	s_cbranch_execz .LBB26_6
; %bb.5:
	v_cmp_neq_f64_e32 vcc, 1.0, v[8:9]
	s_waitcnt lgkmcnt(0)
	v_cmp_neq_f64_e64 s[0:1], 0, v[10:11]
	s_or_b64 s[0:1], vcc, s[0:1]
	s_orn2_b64 s[0:1], s[0:1], exec
.LBB26_6:
	s_or_b64 exec, exec, s[4:5]
	s_and_saveexec_b64 s[4:5], s[0:1]
	s_cbranch_execz .LBB26_37
; %bb.7:
	s_load_dwordx2 s[4:5], s[6:7], 0x18
	v_lshrrev_b32_e32 v18, 3, v19
	v_lshl_or_b32 v12, s8, 6, v18
	s_waitcnt lgkmcnt(0)
	v_cmp_gt_i32_e32 vcc, s5, v12
	s_and_b64 exec, exec, vcc
	s_cbranch_execz .LBB26_37
; %bb.8:
	s_load_dwordx2 s[0:1], s[6:7], 0x68
	v_ashrrev_i32_e32 v13, 31, v12
	v_lshlrev_b64 v[0:1], 2, v[12:13]
	s_waitcnt lgkmcnt(0)
	v_mov_b32_e32 v2, s1
	v_add_co_u32_e32 v0, vcc, s0, v0
	v_addc_co_u32_e32 v1, vcc, v2, v1, vcc
	global_load_dword v0, v[0:1], off
	s_waitcnt vmcnt(0)
	v_subrev_u32_e32 v0, s2, v0
	v_cmp_lt_i32_e32 vcc, -1, v0
	s_and_b64 exec, exec, vcc
	s_cbranch_execz .LBB26_37
; %bb.9:
	s_load_dwordx4 s[0:3], s[6:7], 0x0
	s_load_dword s5, s[6:7], 0x10
	v_sub_u32_e32 v2, 0, v12
	v_max_i32_e32 v2, v12, v2
	s_load_dwordx2 s[14:15], s[6:7], 0x38
	s_waitcnt lgkmcnt(0)
	s_cmp_eq_u32 s2, 1
	s_cselect_b64 s[8:9], -1, 0
	s_cmpk_eq_i32 s0, 0x6f
	s_cselect_b64 s[10:11], -1, 0
	s_cmpk_lg_i32 s0, 0x6f
	s_cselect_b64 s[16:17], -1, 0
	s_abs_i32 s0, s5
	v_cvt_f32_u32_e32 v1, s0
	s_sub_i32 s5, 0, s0
	s_cmp_lg_u32 s2, 1
	v_rcp_iflag_f32_e32 v1, v1
	v_mul_f32_e32 v1, 0x4f7ffffe, v1
	v_cvt_u32_f32_e32 v1, v1
	v_mul_lo_u32 v3, s5, v1
	v_mul_hi_u32 v3, v1, v3
	v_add_u32_e32 v1, v1, v3
	v_mul_hi_u32 v1, v2, v1
	v_mul_lo_u32 v1, v1, s0
	v_sub_u32_e32 v1, v2, v1
	v_subrev_u32_e32 v2, s0, v1
	v_cmp_le_u32_e32 vcc, s0, v1
	v_cndmask_b32_e32 v1, v1, v2, vcc
	v_subrev_u32_e32 v2, s0, v1
	v_cmp_le_u32_e32 vcc, s0, v1
	v_cndmask_b32_e32 v1, v1, v2, vcc
	v_xor_b32_e32 v1, v1, v13
	v_sub_u32_e32 v2, v1, v13
	v_ashrrev_i32_e32 v3, 31, v2
	s_cbranch_scc0 .LBB26_13
; %bb.10:
	s_andn2_b64 vcc, exec, s[10:11]
	v_pk_mov_b32 v[14:15], v[2:3], v[2:3] op_sel:[0,1]
	s_cbranch_vccnz .LBB26_12
; %bb.11:
	v_mul_lo_u32 v1, v3, s14
	v_mul_lo_u32 v16, v2, s15
	v_mad_u64_u32 v[14:15], s[18:19], v2, s14, 0
	v_add3_u32 v15, v15, v16, v1
.LBB26_12:
	s_cbranch_execz .LBB26_14
	s_branch .LBB26_17
.LBB26_13:
                                        ; implicit-def: $vgpr14_vgpr15
.LBB26_14:
	s_andn2_b64 vcc, exec, s[16:17]
	s_cbranch_vccnz .LBB26_16
; %bb.15:
	v_mul_lo_u32 v1, v3, s14
	v_mul_lo_u32 v14, v2, s15
	v_mad_u64_u32 v[2:3], s[16:17], v2, s14, 0
	v_add3_u32 v3, v3, v14, v1
.LBB26_16:
	v_pk_mov_b32 v[14:15], v[2:3], v[2:3] op_sel:[0,1]
.LBB26_17:
	s_cmp_eq_u32 s3, 1
	s_cselect_b64 s[16:17], -1, 0
	s_cmpk_eq_i32 s1, 0x6f
	s_cselect_b64 s[18:19], -1, 0
	s_cmpk_lg_i32 s1, 0x6f
	s_cselect_b64 s[0:1], -1, 0
	s_cmp_lg_u32 s3, 1
	v_mov_b32_e32 v1, 0
	s_cbranch_scc0 .LBB26_21
; %bb.18:
	s_andn2_b64 vcc, exec, s[0:1]
	v_pk_mov_b32 v[16:17], v[0:1], v[0:1] op_sel:[0,1]
	s_cbranch_vccnz .LBB26_20
; %bb.19:
	v_mad_u64_u32 v[16:17], s[0:1], v0, s12, 0
	v_mov_b32_e32 v2, v17
	v_mad_u64_u32 v[2:3], s[0:1], v0, s13, v[2:3]
	v_mov_b32_e32 v17, v2
.LBB26_20:
	s_cbranch_execz .LBB26_22
	s_branch .LBB26_25
.LBB26_21:
                                        ; implicit-def: $vgpr16_vgpr17
.LBB26_22:
	s_andn2_b64 vcc, exec, s[18:19]
	s_cbranch_vccnz .LBB26_24
; %bb.23:
	v_mad_u64_u32 v[2:3], s[0:1], v0, s12, 0
	v_mov_b32_e32 v16, v3
	v_mad_u64_u32 v[0:1], s[0:1], v0, s13, v[16:17]
	v_mov_b32_e32 v3, v0
	v_pk_mov_b32 v[0:1], v[2:3], v[2:3] op_sel:[0,1]
.LBB26_24:
	v_pk_mov_b32 v[16:17], v[0:1], v[0:1] op_sel:[0,1]
.LBB26_25:
	s_load_dwordx2 s[0:1], s[6:7], 0x60
	v_and_b32_e32 v20, 7, v19
	v_pk_mov_b32 v[2:3], 0, 0
	v_cmp_gt_i32_e32 vcc, s4, v20
	v_pk_mov_b32 v[0:1], v[2:3], v[2:3] op_sel:[0,1]
	s_and_saveexec_b64 s[2:3], vcc
	s_cbranch_execz .LBB26_29
; %bb.26:
	s_load_dwordx2 s[20:21], s[6:7], 0x30
	s_load_dwordx2 s[22:23], s[6:7], 0x40
	s_xor_b64 s[6:7], s[10:11], s[8:9]
	s_and_b64 s[6:7], s[6:7], exec
	s_cselect_b32 s9, 0, s15
	s_cselect_b32 s8, 1, s14
	s_xor_b64 s[6:7], s[18:19], s[16:17]
	s_and_b64 s[6:7], s[6:7], exec
	s_cselect_b32 s6, s12, 1
	v_and_b32_e32 v19, 7, v19
	v_mad_u64_u32 v[0:1], s[10:11], s6, v19, 0
	s_cselect_b32 s7, s13, 0
	v_mov_b32_e32 v2, v1
	v_mad_u64_u32 v[2:3], s[10:11], s7, v19, v[2:3]
	v_mov_b32_e32 v1, v2
	v_lshlrev_b64 v[0:1], 4, v[0:1]
	v_lshlrev_b64 v[2:3], 4, v[16:17]
	v_add_co_u32_e32 v0, vcc, v0, v2
	v_addc_co_u32_e32 v1, vcc, v1, v3, vcc
	s_waitcnt lgkmcnt(0)
	v_mov_b32_e32 v2, s23
	v_add_co_u32_e32 v0, vcc, s22, v0
	v_addc_co_u32_e32 v1, vcc, v1, v2, vcc
	v_add_co_u32_e32 v16, vcc, 8, v0
	v_addc_co_u32_e32 v17, vcc, 0, v1, vcc
	v_mad_u64_u32 v[0:1], s[10:11], s8, v19, 0
	v_mov_b32_e32 v2, v1
	v_mad_u64_u32 v[2:3], s[10:11], s9, v19, v[2:3]
	v_mov_b32_e32 v1, v2
	v_lshlrev_b64 v[0:1], 4, v[0:1]
	v_lshlrev_b64 v[2:3], 4, v[14:15]
	v_add_co_u32_e32 v0, vcc, v0, v2
	v_addc_co_u32_e32 v1, vcc, v1, v3, vcc
	v_mov_b32_e32 v2, s21
	v_add_co_u32_e32 v0, vcc, s20, v0
	v_addc_co_u32_e32 v1, vcc, v1, v2, vcc
	s_lshl_b64 s[6:7], s[6:7], 7
	v_add_co_u32_e32 v14, vcc, 8, v0
	s_lshl_b64 s[10:11], s[8:9], 7
	v_pk_mov_b32 v[2:3], 0, 0
	v_addc_co_u32_e32 v15, vcc, 0, v1, vcc
	s_mov_b64 s[8:9], 0
	v_mov_b32_e32 v19, s7
	v_mov_b32_e32 v21, s11
	;; [unrolled: 1-line block ×3, first 2 shown]
	v_pk_mov_b32 v[0:1], v[2:3], v[2:3] op_sel:[0,1]
.LBB26_27:                              ; =>This Inner Loop Header: Depth=1
	global_load_dwordx4 v[24:27], v[16:17], off offset:-8
	global_load_dwordx4 v[28:31], v[14:15], off offset:-8
	v_add_co_u32_e32 v16, vcc, s6, v16
	v_addc_co_u32_e32 v17, vcc, v17, v19, vcc
	v_add_co_u32_e32 v14, vcc, s10, v14
	v_add_u32_e32 v22, 8, v22
	v_addc_co_u32_e32 v15, vcc, v15, v21, vcc
	v_cmp_le_i32_e32 vcc, s4, v22
	s_or_b64 s[8:9], vcc, s[8:9]
	s_waitcnt vmcnt(0)
	v_mul_f64 v[32:33], v[26:27], -v[30:31]
	v_mul_f64 v[26:27], v[26:27], v[28:29]
	v_fmac_f64_e32 v[32:33], v[28:29], v[24:25]
	v_fmac_f64_e32 v[26:27], v[30:31], v[24:25]
	v_add_f64 v[0:1], v[0:1], v[32:33]
	v_add_f64 v[2:3], v[2:3], v[26:27]
	s_andn2_b64 exec, exec, s[8:9]
	s_cbranch_execnz .LBB26_27
; %bb.28:
	s_or_b64 exec, exec, s[8:9]
.LBB26_29:
	s_or_b64 exec, exec, s[2:3]
	v_lshlrev_b32_e32 v14, 4, v20
	v_lshl_or_b32 v14, v18, 7, v14
	v_cmp_gt_u32_e32 vcc, 4, v20
	ds_write_b128 v14, v[0:3]
	s_waitcnt lgkmcnt(0)
	s_barrier
	s_and_saveexec_b64 s[2:3], vcc
	s_cbranch_execz .LBB26_31
; %bb.30:
	ds_read_b128 v[0:3], v14 offset:64
	ds_read_b128 v[22:25], v14
	s_waitcnt lgkmcnt(0)
	v_add_f64 v[0:1], v[0:1], v[22:23]
	v_add_f64 v[2:3], v[2:3], v[24:25]
	ds_write_b128 v14, v[0:3]
.LBB26_31:
	s_or_b64 exec, exec, s[2:3]
	v_cmp_gt_u32_e32 vcc, 2, v20
	s_waitcnt lgkmcnt(0)
	s_barrier
	s_and_saveexec_b64 s[2:3], vcc
	s_cbranch_execz .LBB26_33
; %bb.32:
	ds_read_b128 v[0:3], v14
	ds_read_b128 v[22:25], v14 offset:32
	s_waitcnt lgkmcnt(0)
	v_add_f64 v[0:1], v[22:23], v[0:1]
	v_add_f64 v[2:3], v[24:25], v[2:3]
	ds_write_b128 v14, v[0:3]
.LBB26_33:
	s_or_b64 exec, exec, s[2:3]
	v_cmp_eq_u32_e32 vcc, 0, v20
	v_lshlrev_b32_e32 v0, 7, v18
	s_waitcnt lgkmcnt(0)
	s_barrier
	s_and_saveexec_b64 s[2:3], vcc
	s_cbranch_execz .LBB26_35
; %bb.34:
	ds_read_b128 v[16:19], v0 offset:16
	ds_read_b128 v[20:23], v14
	s_waitcnt lgkmcnt(0)
	v_add_f64 v[16:17], v[16:17], v[20:21]
	v_add_f64 v[18:19], v[18:19], v[22:23]
	ds_write_b128 v14, v[16:19]
.LBB26_35:
	s_or_b64 exec, exec, s[2:3]
	s_waitcnt lgkmcnt(0)
	s_barrier
	s_and_b64 exec, exec, vcc
	s_cbranch_execz .LBB26_37
; %bb.36:
	v_lshlrev_b64 v[2:3], 4, v[12:13]
	v_mov_b32_e32 v1, s1
	v_add_co_u32_e32 v16, vcc, s0, v2
	v_addc_co_u32_e32 v17, vcc, v1, v3, vcc
	global_load_dwordx4 v[12:15], v[16:17], off
	ds_read_b128 v[0:3], v0
	s_waitcnt lgkmcnt(0)
	v_mul_f64 v[18:19], v[2:3], -v[6:7]
	v_mul_f64 v[2:3], v[4:5], v[2:3]
	v_fmac_f64_e32 v[18:19], v[4:5], v[0:1]
	v_fmac_f64_e32 v[2:3], v[6:7], v[0:1]
	s_waitcnt vmcnt(0)
	v_mul_f64 v[0:1], v[10:11], -v[14:15]
	v_mul_f64 v[4:5], v[10:11], v[12:13]
	v_fmac_f64_e32 v[0:1], v[12:13], v[8:9]
	v_fmac_f64_e32 v[4:5], v[14:15], v[8:9]
	v_add_f64 v[0:1], v[0:1], v[18:19]
	v_add_f64 v[2:3], v[4:5], v[2:3]
	global_store_dwordx4 v[16:17], v[0:3], off
.LBB26_37:
	s_endpgm
	.section	.rodata,"a",@progbits
	.p2align	6, 0x0
	.amdhsa_kernel _ZN9rocsparseL16sddmm_ell_kernelILi512ELi8E21rocsparse_complex_numIdEiiS2_S2_S2_EEv20rocsparse_operation_S3_16rocsparse_order_S4_T3_S5_S5_T2_NS_24const_host_device_scalarIT1_EEPKT4_lPKT5_lS9_PT6_PKS5_21rocsparse_index_base_b
		.amdhsa_group_segment_fixed_size 16384
		.amdhsa_private_segment_fixed_size 0
		.amdhsa_kernarg_size 120
		.amdhsa_user_sgpr_count 8
		.amdhsa_user_sgpr_private_segment_buffer 1
		.amdhsa_user_sgpr_dispatch_ptr 1
		.amdhsa_user_sgpr_queue_ptr 0
		.amdhsa_user_sgpr_kernarg_segment_ptr 1
		.amdhsa_user_sgpr_dispatch_id 0
		.amdhsa_user_sgpr_flat_scratch_init 0
		.amdhsa_user_sgpr_kernarg_preload_length 0
		.amdhsa_user_sgpr_kernarg_preload_offset 0
		.amdhsa_user_sgpr_private_segment_size 0
		.amdhsa_uses_dynamic_stack 0
		.amdhsa_system_sgpr_private_segment_wavefront_offset 0
		.amdhsa_system_sgpr_workgroup_id_x 1
		.amdhsa_system_sgpr_workgroup_id_y 0
		.amdhsa_system_sgpr_workgroup_id_z 0
		.amdhsa_system_sgpr_workgroup_info 0
		.amdhsa_system_vgpr_workitem_id 2
		.amdhsa_next_free_vgpr 34
		.amdhsa_next_free_sgpr 24
		.amdhsa_accum_offset 36
		.amdhsa_reserve_vcc 1
		.amdhsa_reserve_flat_scratch 0
		.amdhsa_float_round_mode_32 0
		.amdhsa_float_round_mode_16_64 0
		.amdhsa_float_denorm_mode_32 3
		.amdhsa_float_denorm_mode_16_64 3
		.amdhsa_dx10_clamp 1
		.amdhsa_ieee_mode 1
		.amdhsa_fp16_overflow 0
		.amdhsa_tg_split 0
		.amdhsa_exception_fp_ieee_invalid_op 0
		.amdhsa_exception_fp_denorm_src 0
		.amdhsa_exception_fp_ieee_div_zero 0
		.amdhsa_exception_fp_ieee_overflow 0
		.amdhsa_exception_fp_ieee_underflow 0
		.amdhsa_exception_fp_ieee_inexact 0
		.amdhsa_exception_int_div_zero 0
	.end_amdhsa_kernel
	.section	.text._ZN9rocsparseL16sddmm_ell_kernelILi512ELi8E21rocsparse_complex_numIdEiiS2_S2_S2_EEv20rocsparse_operation_S3_16rocsparse_order_S4_T3_S5_S5_T2_NS_24const_host_device_scalarIT1_EEPKT4_lPKT5_lS9_PT6_PKS5_21rocsparse_index_base_b,"axG",@progbits,_ZN9rocsparseL16sddmm_ell_kernelILi512ELi8E21rocsparse_complex_numIdEiiS2_S2_S2_EEv20rocsparse_operation_S3_16rocsparse_order_S4_T3_S5_S5_T2_NS_24const_host_device_scalarIT1_EEPKT4_lPKT5_lS9_PT6_PKS5_21rocsparse_index_base_b,comdat
.Lfunc_end26:
	.size	_ZN9rocsparseL16sddmm_ell_kernelILi512ELi8E21rocsparse_complex_numIdEiiS2_S2_S2_EEv20rocsparse_operation_S3_16rocsparse_order_S4_T3_S5_S5_T2_NS_24const_host_device_scalarIT1_EEPKT4_lPKT5_lS9_PT6_PKS5_21rocsparse_index_base_b, .Lfunc_end26-_ZN9rocsparseL16sddmm_ell_kernelILi512ELi8E21rocsparse_complex_numIdEiiS2_S2_S2_EEv20rocsparse_operation_S3_16rocsparse_order_S4_T3_S5_S5_T2_NS_24const_host_device_scalarIT1_EEPKT4_lPKT5_lS9_PT6_PKS5_21rocsparse_index_base_b
                                        ; -- End function
	.section	.AMDGPU.csdata,"",@progbits
; Kernel info:
; codeLenInByte = 1600
; NumSgprs: 28
; NumVgprs: 34
; NumAgprs: 0
; TotalNumVgprs: 34
; ScratchSize: 0
; MemoryBound: 0
; FloatMode: 240
; IeeeMode: 1
; LDSByteSize: 16384 bytes/workgroup (compile time only)
; SGPRBlocks: 3
; VGPRBlocks: 4
; NumSGPRsForWavesPerEU: 28
; NumVGPRsForWavesPerEU: 34
; AccumOffset: 36
; Occupancy: 8
; WaveLimiterHint : 0
; COMPUTE_PGM_RSRC2:SCRATCH_EN: 0
; COMPUTE_PGM_RSRC2:USER_SGPR: 8
; COMPUTE_PGM_RSRC2:TRAP_HANDLER: 0
; COMPUTE_PGM_RSRC2:TGID_X_EN: 1
; COMPUTE_PGM_RSRC2:TGID_Y_EN: 0
; COMPUTE_PGM_RSRC2:TGID_Z_EN: 0
; COMPUTE_PGM_RSRC2:TIDIG_COMP_CNT: 2
; COMPUTE_PGM_RSRC3_GFX90A:ACCUM_OFFSET: 8
; COMPUTE_PGM_RSRC3_GFX90A:TG_SPLIT: 0
	.section	.text._ZN9rocsparseL16sddmm_ell_kernelILi512ELi4E21rocsparse_complex_numIdEiiS2_S2_S2_EEv20rocsparse_operation_S3_16rocsparse_order_S4_T3_S5_S5_T2_NS_24const_host_device_scalarIT1_EEPKT4_lPKT5_lS9_PT6_PKS5_21rocsparse_index_base_b,"axG",@progbits,_ZN9rocsparseL16sddmm_ell_kernelILi512ELi4E21rocsparse_complex_numIdEiiS2_S2_S2_EEv20rocsparse_operation_S3_16rocsparse_order_S4_T3_S5_S5_T2_NS_24const_host_device_scalarIT1_EEPKT4_lPKT5_lS9_PT6_PKS5_21rocsparse_index_base_b,comdat
	.globl	_ZN9rocsparseL16sddmm_ell_kernelILi512ELi4E21rocsparse_complex_numIdEiiS2_S2_S2_EEv20rocsparse_operation_S3_16rocsparse_order_S4_T3_S5_S5_T2_NS_24const_host_device_scalarIT1_EEPKT4_lPKT5_lS9_PT6_PKS5_21rocsparse_index_base_b ; -- Begin function _ZN9rocsparseL16sddmm_ell_kernelILi512ELi4E21rocsparse_complex_numIdEiiS2_S2_S2_EEv20rocsparse_operation_S3_16rocsparse_order_S4_T3_S5_S5_T2_NS_24const_host_device_scalarIT1_EEPKT4_lPKT5_lS9_PT6_PKS5_21rocsparse_index_base_b
	.p2align	8
	.type	_ZN9rocsparseL16sddmm_ell_kernelILi512ELi4E21rocsparse_complex_numIdEiiS2_S2_S2_EEv20rocsparse_operation_S3_16rocsparse_order_S4_T3_S5_S5_T2_NS_24const_host_device_scalarIT1_EEPKT4_lPKT5_lS9_PT6_PKS5_21rocsparse_index_base_b,@function
_ZN9rocsparseL16sddmm_ell_kernelILi512ELi4E21rocsparse_complex_numIdEiiS2_S2_S2_EEv20rocsparse_operation_S3_16rocsparse_order_S4_T3_S5_S5_T2_NS_24const_host_device_scalarIT1_EEPKT4_lPKT5_lS9_PT6_PKS5_21rocsparse_index_base_b: ; @_ZN9rocsparseL16sddmm_ell_kernelILi512ELi4E21rocsparse_complex_numIdEiiS2_S2_S2_EEv20rocsparse_operation_S3_16rocsparse_order_S4_T3_S5_S5_T2_NS_24const_host_device_scalarIT1_EEPKT4_lPKT5_lS9_PT6_PKS5_21rocsparse_index_base_b
; %bb.0:
	s_load_dwordx2 s[2:3], s[6:7], 0x70
	s_load_dwordx4 s[16:19], s[6:7], 0x20
	s_load_dwordx4 s[12:15], s[6:7], 0x48
	s_mov_b64 s[10:11], src_shared_base
	s_load_dwordx2 s[4:5], s[4:5], 0x4
	s_waitcnt lgkmcnt(0)
	s_bitcmp1_b32 s3, 0
	s_cselect_b64 s[0:1], -1, 0
	s_and_b64 vcc, s[0:1], exec
	s_cselect_b32 s3, s11, s17
	s_lshr_b32 s4, s4, 16
	v_and_b32_e32 v19, 0x3ff, v0
	s_mul_i32 s4, s4, s5
	v_mul_lo_u32 v1, s4, v19
	v_bfe_u32 v2, v0, 10, 10
	v_mad_u32_u24 v1, v2, s5, v1
	v_bfe_u32 v0, v0, 20, 10
	v_add_lshl_u32 v6, v1, v0, 3
	v_mov_b32_e32 v4, s16
	v_add_u32_e32 v5, 0x3000, v6
	v_pk_mov_b32 v[0:1], s[16:17], s[16:17] op_sel:[0,1]
	v_pk_mov_b32 v[2:3], s[14:15], s[14:15] op_sel:[0,1]
	ds_write2st64_b64 v6, v[2:3], v[0:1] offset0:16 offset1:24
	v_cndmask_b32_e64 v0, v4, v5, s[0:1]
	v_mov_b32_e32 v1, s3
	flat_load_dwordx2 v[4:5], v[0:1]
	s_load_dwordx2 s[4:5], s[6:7], 0x58
	s_xor_b64 s[20:21], s[0:1], -1
	v_add_u32_e32 v0, 0x2000, v6
	v_pk_mov_b32 v[6:7], s[18:19], s[18:19] op_sel:[0,1]
	s_cbranch_vccnz .LBB27_2
; %bb.1:
	v_pk_mov_b32 v[2:3], s[16:17], s[16:17] op_sel:[0,1]
	flat_load_dwordx2 v[6:7], v[2:3] offset:8
.LBB27_2:
	s_and_b64 s[16:17], s[0:1], exec
	s_cselect_b32 s3, s11, s15
	v_mov_b32_e32 v1, s14
	v_cndmask_b32_e64 v0, v1, v0, s[0:1]
	v_mov_b32_e32 v1, s3
	flat_load_dwordx2 v[8:9], v[0:1]
	s_andn2_b64 vcc, exec, s[20:21]
	s_waitcnt lgkmcnt(0)
	v_pk_mov_b32 v[10:11], s[4:5], s[4:5] op_sel:[0,1]
	s_cbranch_vccnz .LBB27_4
; %bb.3:
	v_pk_mov_b32 v[0:1], s[14:15], s[14:15] op_sel:[0,1]
	flat_load_dwordx2 v[10:11], v[0:1] offset:8
.LBB27_4:
	s_waitcnt vmcnt(0)
	v_cmp_eq_f64_e32 vcc, 0, v[4:5]
	v_cmp_eq_f64_e64 s[0:1], 0, v[6:7]
	s_and_b64 s[10:11], vcc, s[0:1]
	s_mov_b64 s[0:1], -1
	s_and_saveexec_b64 s[4:5], s[10:11]
	s_cbranch_execz .LBB27_6
; %bb.5:
	v_cmp_neq_f64_e32 vcc, 1.0, v[8:9]
	s_waitcnt lgkmcnt(0)
	v_cmp_neq_f64_e64 s[0:1], 0, v[10:11]
	s_or_b64 s[0:1], vcc, s[0:1]
	s_orn2_b64 s[0:1], s[0:1], exec
.LBB27_6:
	s_or_b64 exec, exec, s[4:5]
	s_and_saveexec_b64 s[4:5], s[0:1]
	s_cbranch_execz .LBB27_35
; %bb.7:
	s_load_dwordx2 s[4:5], s[6:7], 0x18
	v_lshrrev_b32_e32 v18, 2, v19
	v_lshl_or_b32 v12, s8, 7, v18
	s_waitcnt lgkmcnt(0)
	v_cmp_gt_i32_e32 vcc, s5, v12
	s_and_b64 exec, exec, vcc
	s_cbranch_execz .LBB27_35
; %bb.8:
	s_load_dwordx2 s[0:1], s[6:7], 0x68
	v_ashrrev_i32_e32 v13, 31, v12
	v_lshlrev_b64 v[0:1], 2, v[12:13]
	s_waitcnt lgkmcnt(0)
	v_mov_b32_e32 v2, s1
	v_add_co_u32_e32 v0, vcc, s0, v0
	v_addc_co_u32_e32 v1, vcc, v2, v1, vcc
	global_load_dword v0, v[0:1], off
	s_waitcnt vmcnt(0)
	v_subrev_u32_e32 v0, s2, v0
	v_cmp_lt_i32_e32 vcc, -1, v0
	s_and_b64 exec, exec, vcc
	s_cbranch_execz .LBB27_35
; %bb.9:
	s_load_dwordx4 s[0:3], s[6:7], 0x0
	s_load_dword s5, s[6:7], 0x10
	v_sub_u32_e32 v2, 0, v12
	v_max_i32_e32 v2, v12, v2
	s_load_dwordx2 s[14:15], s[6:7], 0x38
	s_waitcnt lgkmcnt(0)
	s_cmp_eq_u32 s2, 1
	s_cselect_b64 s[8:9], -1, 0
	s_cmpk_eq_i32 s0, 0x6f
	s_cselect_b64 s[10:11], -1, 0
	s_cmpk_lg_i32 s0, 0x6f
	s_cselect_b64 s[16:17], -1, 0
	s_abs_i32 s0, s5
	v_cvt_f32_u32_e32 v1, s0
	s_sub_i32 s5, 0, s0
	s_cmp_lg_u32 s2, 1
	v_rcp_iflag_f32_e32 v1, v1
	v_mul_f32_e32 v1, 0x4f7ffffe, v1
	v_cvt_u32_f32_e32 v1, v1
	v_mul_lo_u32 v3, s5, v1
	v_mul_hi_u32 v3, v1, v3
	v_add_u32_e32 v1, v1, v3
	v_mul_hi_u32 v1, v2, v1
	v_mul_lo_u32 v1, v1, s0
	v_sub_u32_e32 v1, v2, v1
	v_subrev_u32_e32 v2, s0, v1
	v_cmp_le_u32_e32 vcc, s0, v1
	v_cndmask_b32_e32 v1, v1, v2, vcc
	v_subrev_u32_e32 v2, s0, v1
	v_cmp_le_u32_e32 vcc, s0, v1
	v_cndmask_b32_e32 v1, v1, v2, vcc
	v_xor_b32_e32 v1, v1, v13
	v_sub_u32_e32 v2, v1, v13
	v_ashrrev_i32_e32 v3, 31, v2
	s_cbranch_scc0 .LBB27_13
; %bb.10:
	s_andn2_b64 vcc, exec, s[10:11]
	v_pk_mov_b32 v[14:15], v[2:3], v[2:3] op_sel:[0,1]
	s_cbranch_vccnz .LBB27_12
; %bb.11:
	v_mul_lo_u32 v1, v3, s14
	v_mul_lo_u32 v16, v2, s15
	v_mad_u64_u32 v[14:15], s[18:19], v2, s14, 0
	v_add3_u32 v15, v15, v16, v1
.LBB27_12:
	s_cbranch_execz .LBB27_14
	s_branch .LBB27_17
.LBB27_13:
                                        ; implicit-def: $vgpr14_vgpr15
.LBB27_14:
	s_andn2_b64 vcc, exec, s[16:17]
	s_cbranch_vccnz .LBB27_16
; %bb.15:
	v_mul_lo_u32 v1, v3, s14
	v_mul_lo_u32 v14, v2, s15
	v_mad_u64_u32 v[2:3], s[16:17], v2, s14, 0
	v_add3_u32 v3, v3, v14, v1
.LBB27_16:
	v_pk_mov_b32 v[14:15], v[2:3], v[2:3] op_sel:[0,1]
.LBB27_17:
	s_cmp_eq_u32 s3, 1
	s_cselect_b64 s[16:17], -1, 0
	s_cmpk_eq_i32 s1, 0x6f
	s_cselect_b64 s[18:19], -1, 0
	s_cmpk_lg_i32 s1, 0x6f
	s_cselect_b64 s[0:1], -1, 0
	s_cmp_lg_u32 s3, 1
	v_mov_b32_e32 v1, 0
	s_cbranch_scc0 .LBB27_21
; %bb.18:
	s_andn2_b64 vcc, exec, s[0:1]
	v_pk_mov_b32 v[16:17], v[0:1], v[0:1] op_sel:[0,1]
	s_cbranch_vccnz .LBB27_20
; %bb.19:
	v_mad_u64_u32 v[16:17], s[0:1], v0, s12, 0
	v_mov_b32_e32 v2, v17
	v_mad_u64_u32 v[2:3], s[0:1], v0, s13, v[2:3]
	v_mov_b32_e32 v17, v2
.LBB27_20:
	s_cbranch_execz .LBB27_22
	s_branch .LBB27_25
.LBB27_21:
                                        ; implicit-def: $vgpr16_vgpr17
.LBB27_22:
	s_andn2_b64 vcc, exec, s[18:19]
	s_cbranch_vccnz .LBB27_24
; %bb.23:
	v_mad_u64_u32 v[2:3], s[0:1], v0, s12, 0
	v_mov_b32_e32 v16, v3
	v_mad_u64_u32 v[0:1], s[0:1], v0, s13, v[16:17]
	v_mov_b32_e32 v3, v0
	v_pk_mov_b32 v[0:1], v[2:3], v[2:3] op_sel:[0,1]
.LBB27_24:
	v_pk_mov_b32 v[16:17], v[0:1], v[0:1] op_sel:[0,1]
.LBB27_25:
	s_load_dwordx2 s[0:1], s[6:7], 0x60
	v_and_b32_e32 v20, 3, v19
	v_pk_mov_b32 v[2:3], 0, 0
	v_cmp_gt_i32_e32 vcc, s4, v20
	v_pk_mov_b32 v[0:1], v[2:3], v[2:3] op_sel:[0,1]
	s_and_saveexec_b64 s[2:3], vcc
	s_cbranch_execz .LBB27_29
; %bb.26:
	s_load_dwordx2 s[20:21], s[6:7], 0x30
	s_load_dwordx2 s[22:23], s[6:7], 0x40
	s_xor_b64 s[6:7], s[10:11], s[8:9]
	s_and_b64 s[6:7], s[6:7], exec
	s_cselect_b32 s9, 0, s15
	s_cselect_b32 s8, 1, s14
	s_xor_b64 s[6:7], s[18:19], s[16:17]
	s_and_b64 s[6:7], s[6:7], exec
	s_cselect_b32 s6, s12, 1
	v_and_b32_e32 v19, 3, v19
	v_mad_u64_u32 v[0:1], s[10:11], s6, v19, 0
	s_cselect_b32 s7, s13, 0
	v_mov_b32_e32 v2, v1
	v_mad_u64_u32 v[2:3], s[10:11], s7, v19, v[2:3]
	v_mov_b32_e32 v1, v2
	v_lshlrev_b64 v[0:1], 4, v[0:1]
	v_lshlrev_b64 v[2:3], 4, v[16:17]
	v_add_co_u32_e32 v0, vcc, v0, v2
	v_addc_co_u32_e32 v1, vcc, v1, v3, vcc
	s_waitcnt lgkmcnt(0)
	v_mov_b32_e32 v2, s23
	v_add_co_u32_e32 v0, vcc, s22, v0
	v_addc_co_u32_e32 v1, vcc, v1, v2, vcc
	v_add_co_u32_e32 v16, vcc, 8, v0
	v_addc_co_u32_e32 v17, vcc, 0, v1, vcc
	v_mad_u64_u32 v[0:1], s[10:11], s8, v19, 0
	v_mov_b32_e32 v2, v1
	v_mad_u64_u32 v[2:3], s[10:11], s9, v19, v[2:3]
	v_mov_b32_e32 v1, v2
	v_lshlrev_b64 v[0:1], 4, v[0:1]
	v_lshlrev_b64 v[2:3], 4, v[14:15]
	v_add_co_u32_e32 v0, vcc, v0, v2
	v_addc_co_u32_e32 v1, vcc, v1, v3, vcc
	v_mov_b32_e32 v2, s21
	v_add_co_u32_e32 v0, vcc, s20, v0
	v_addc_co_u32_e32 v1, vcc, v1, v2, vcc
	s_lshl_b64 s[6:7], s[6:7], 6
	v_add_co_u32_e32 v14, vcc, 8, v0
	s_lshl_b64 s[10:11], s[8:9], 6
	v_pk_mov_b32 v[2:3], 0, 0
	v_addc_co_u32_e32 v15, vcc, 0, v1, vcc
	s_mov_b64 s[8:9], 0
	v_mov_b32_e32 v19, s7
	v_mov_b32_e32 v21, s11
	;; [unrolled: 1-line block ×3, first 2 shown]
	v_pk_mov_b32 v[0:1], v[2:3], v[2:3] op_sel:[0,1]
.LBB27_27:                              ; =>This Inner Loop Header: Depth=1
	global_load_dwordx4 v[24:27], v[16:17], off offset:-8
	global_load_dwordx4 v[28:31], v[14:15], off offset:-8
	v_add_co_u32_e32 v16, vcc, s6, v16
	v_addc_co_u32_e32 v17, vcc, v17, v19, vcc
	v_add_co_u32_e32 v14, vcc, s10, v14
	v_add_u32_e32 v22, 4, v22
	v_addc_co_u32_e32 v15, vcc, v15, v21, vcc
	v_cmp_le_i32_e32 vcc, s4, v22
	s_or_b64 s[8:9], vcc, s[8:9]
	s_waitcnt vmcnt(0)
	v_mul_f64 v[32:33], v[26:27], -v[30:31]
	v_mul_f64 v[26:27], v[26:27], v[28:29]
	v_fmac_f64_e32 v[32:33], v[28:29], v[24:25]
	v_fmac_f64_e32 v[26:27], v[30:31], v[24:25]
	v_add_f64 v[0:1], v[0:1], v[32:33]
	v_add_f64 v[2:3], v[2:3], v[26:27]
	s_andn2_b64 exec, exec, s[8:9]
	s_cbranch_execnz .LBB27_27
; %bb.28:
	s_or_b64 exec, exec, s[8:9]
.LBB27_29:
	s_or_b64 exec, exec, s[2:3]
	v_lshlrev_b32_e32 v14, 4, v20
	v_lshl_or_b32 v14, v18, 6, v14
	v_cmp_gt_u32_e32 vcc, 2, v20
	ds_write_b128 v14, v[0:3]
	s_waitcnt lgkmcnt(0)
	s_barrier
	s_and_saveexec_b64 s[2:3], vcc
	s_cbranch_execz .LBB27_31
; %bb.30:
	ds_read_b128 v[0:3], v14
	ds_read_b128 v[22:25], v14 offset:32
	s_waitcnt lgkmcnt(0)
	v_add_f64 v[0:1], v[22:23], v[0:1]
	v_add_f64 v[2:3], v[24:25], v[2:3]
	ds_write_b128 v14, v[0:3]
.LBB27_31:
	s_or_b64 exec, exec, s[2:3]
	v_cmp_eq_u32_e32 vcc, 0, v20
	v_lshlrev_b32_e32 v0, 6, v18
	s_waitcnt lgkmcnt(0)
	s_barrier
	s_and_saveexec_b64 s[2:3], vcc
	s_cbranch_execz .LBB27_33
; %bb.32:
	ds_read_b128 v[16:19], v0 offset:16
	ds_read_b128 v[20:23], v14
	s_waitcnt lgkmcnt(0)
	v_add_f64 v[16:17], v[16:17], v[20:21]
	v_add_f64 v[18:19], v[18:19], v[22:23]
	ds_write_b128 v14, v[16:19]
.LBB27_33:
	s_or_b64 exec, exec, s[2:3]
	s_waitcnt lgkmcnt(0)
	s_barrier
	s_and_b64 exec, exec, vcc
	s_cbranch_execz .LBB27_35
; %bb.34:
	v_lshlrev_b64 v[2:3], 4, v[12:13]
	v_mov_b32_e32 v1, s1
	v_add_co_u32_e32 v16, vcc, s0, v2
	v_addc_co_u32_e32 v17, vcc, v1, v3, vcc
	global_load_dwordx4 v[12:15], v[16:17], off
	ds_read_b128 v[0:3], v0
	s_waitcnt lgkmcnt(0)
	v_mul_f64 v[18:19], v[2:3], -v[6:7]
	v_mul_f64 v[2:3], v[4:5], v[2:3]
	v_fmac_f64_e32 v[18:19], v[4:5], v[0:1]
	v_fmac_f64_e32 v[2:3], v[6:7], v[0:1]
	s_waitcnt vmcnt(0)
	v_mul_f64 v[0:1], v[10:11], -v[14:15]
	v_mul_f64 v[4:5], v[10:11], v[12:13]
	v_fmac_f64_e32 v[0:1], v[12:13], v[8:9]
	v_fmac_f64_e32 v[4:5], v[14:15], v[8:9]
	v_add_f64 v[0:1], v[0:1], v[18:19]
	v_add_f64 v[2:3], v[4:5], v[2:3]
	global_store_dwordx4 v[16:17], v[0:3], off
.LBB27_35:
	s_endpgm
	.section	.rodata,"a",@progbits
	.p2align	6, 0x0
	.amdhsa_kernel _ZN9rocsparseL16sddmm_ell_kernelILi512ELi4E21rocsparse_complex_numIdEiiS2_S2_S2_EEv20rocsparse_operation_S3_16rocsparse_order_S4_T3_S5_S5_T2_NS_24const_host_device_scalarIT1_EEPKT4_lPKT5_lS9_PT6_PKS5_21rocsparse_index_base_b
		.amdhsa_group_segment_fixed_size 16384
		.amdhsa_private_segment_fixed_size 0
		.amdhsa_kernarg_size 120
		.amdhsa_user_sgpr_count 8
		.amdhsa_user_sgpr_private_segment_buffer 1
		.amdhsa_user_sgpr_dispatch_ptr 1
		.amdhsa_user_sgpr_queue_ptr 0
		.amdhsa_user_sgpr_kernarg_segment_ptr 1
		.amdhsa_user_sgpr_dispatch_id 0
		.amdhsa_user_sgpr_flat_scratch_init 0
		.amdhsa_user_sgpr_kernarg_preload_length 0
		.amdhsa_user_sgpr_kernarg_preload_offset 0
		.amdhsa_user_sgpr_private_segment_size 0
		.amdhsa_uses_dynamic_stack 0
		.amdhsa_system_sgpr_private_segment_wavefront_offset 0
		.amdhsa_system_sgpr_workgroup_id_x 1
		.amdhsa_system_sgpr_workgroup_id_y 0
		.amdhsa_system_sgpr_workgroup_id_z 0
		.amdhsa_system_sgpr_workgroup_info 0
		.amdhsa_system_vgpr_workitem_id 2
		.amdhsa_next_free_vgpr 34
		.amdhsa_next_free_sgpr 24
		.amdhsa_accum_offset 36
		.amdhsa_reserve_vcc 1
		.amdhsa_reserve_flat_scratch 0
		.amdhsa_float_round_mode_32 0
		.amdhsa_float_round_mode_16_64 0
		.amdhsa_float_denorm_mode_32 3
		.amdhsa_float_denorm_mode_16_64 3
		.amdhsa_dx10_clamp 1
		.amdhsa_ieee_mode 1
		.amdhsa_fp16_overflow 0
		.amdhsa_tg_split 0
		.amdhsa_exception_fp_ieee_invalid_op 0
		.amdhsa_exception_fp_denorm_src 0
		.amdhsa_exception_fp_ieee_div_zero 0
		.amdhsa_exception_fp_ieee_overflow 0
		.amdhsa_exception_fp_ieee_underflow 0
		.amdhsa_exception_fp_ieee_inexact 0
		.amdhsa_exception_int_div_zero 0
	.end_amdhsa_kernel
	.section	.text._ZN9rocsparseL16sddmm_ell_kernelILi512ELi4E21rocsparse_complex_numIdEiiS2_S2_S2_EEv20rocsparse_operation_S3_16rocsparse_order_S4_T3_S5_S5_T2_NS_24const_host_device_scalarIT1_EEPKT4_lPKT5_lS9_PT6_PKS5_21rocsparse_index_base_b,"axG",@progbits,_ZN9rocsparseL16sddmm_ell_kernelILi512ELi4E21rocsparse_complex_numIdEiiS2_S2_S2_EEv20rocsparse_operation_S3_16rocsparse_order_S4_T3_S5_S5_T2_NS_24const_host_device_scalarIT1_EEPKT4_lPKT5_lS9_PT6_PKS5_21rocsparse_index_base_b,comdat
.Lfunc_end27:
	.size	_ZN9rocsparseL16sddmm_ell_kernelILi512ELi4E21rocsparse_complex_numIdEiiS2_S2_S2_EEv20rocsparse_operation_S3_16rocsparse_order_S4_T3_S5_S5_T2_NS_24const_host_device_scalarIT1_EEPKT4_lPKT5_lS9_PT6_PKS5_21rocsparse_index_base_b, .Lfunc_end27-_ZN9rocsparseL16sddmm_ell_kernelILi512ELi4E21rocsparse_complex_numIdEiiS2_S2_S2_EEv20rocsparse_operation_S3_16rocsparse_order_S4_T3_S5_S5_T2_NS_24const_host_device_scalarIT1_EEPKT4_lPKT5_lS9_PT6_PKS5_21rocsparse_index_base_b
                                        ; -- End function
	.section	.AMDGPU.csdata,"",@progbits
; Kernel info:
; codeLenInByte = 1532
; NumSgprs: 28
; NumVgprs: 34
; NumAgprs: 0
; TotalNumVgprs: 34
; ScratchSize: 0
; MemoryBound: 0
; FloatMode: 240
; IeeeMode: 1
; LDSByteSize: 16384 bytes/workgroup (compile time only)
; SGPRBlocks: 3
; VGPRBlocks: 4
; NumSGPRsForWavesPerEU: 28
; NumVGPRsForWavesPerEU: 34
; AccumOffset: 36
; Occupancy: 8
; WaveLimiterHint : 0
; COMPUTE_PGM_RSRC2:SCRATCH_EN: 0
; COMPUTE_PGM_RSRC2:USER_SGPR: 8
; COMPUTE_PGM_RSRC2:TRAP_HANDLER: 0
; COMPUTE_PGM_RSRC2:TGID_X_EN: 1
; COMPUTE_PGM_RSRC2:TGID_Y_EN: 0
; COMPUTE_PGM_RSRC2:TGID_Z_EN: 0
; COMPUTE_PGM_RSRC2:TIDIG_COMP_CNT: 2
; COMPUTE_PGM_RSRC3_GFX90A:ACCUM_OFFSET: 8
; COMPUTE_PGM_RSRC3_GFX90A:TG_SPLIT: 0
	.section	.text._ZN9rocsparseL16sddmm_ell_kernelILi512ELi2E21rocsparse_complex_numIdEiiS2_S2_S2_EEv20rocsparse_operation_S3_16rocsparse_order_S4_T3_S5_S5_T2_NS_24const_host_device_scalarIT1_EEPKT4_lPKT5_lS9_PT6_PKS5_21rocsparse_index_base_b,"axG",@progbits,_ZN9rocsparseL16sddmm_ell_kernelILi512ELi2E21rocsparse_complex_numIdEiiS2_S2_S2_EEv20rocsparse_operation_S3_16rocsparse_order_S4_T3_S5_S5_T2_NS_24const_host_device_scalarIT1_EEPKT4_lPKT5_lS9_PT6_PKS5_21rocsparse_index_base_b,comdat
	.globl	_ZN9rocsparseL16sddmm_ell_kernelILi512ELi2E21rocsparse_complex_numIdEiiS2_S2_S2_EEv20rocsparse_operation_S3_16rocsparse_order_S4_T3_S5_S5_T2_NS_24const_host_device_scalarIT1_EEPKT4_lPKT5_lS9_PT6_PKS5_21rocsparse_index_base_b ; -- Begin function _ZN9rocsparseL16sddmm_ell_kernelILi512ELi2E21rocsparse_complex_numIdEiiS2_S2_S2_EEv20rocsparse_operation_S3_16rocsparse_order_S4_T3_S5_S5_T2_NS_24const_host_device_scalarIT1_EEPKT4_lPKT5_lS9_PT6_PKS5_21rocsparse_index_base_b
	.p2align	8
	.type	_ZN9rocsparseL16sddmm_ell_kernelILi512ELi2E21rocsparse_complex_numIdEiiS2_S2_S2_EEv20rocsparse_operation_S3_16rocsparse_order_S4_T3_S5_S5_T2_NS_24const_host_device_scalarIT1_EEPKT4_lPKT5_lS9_PT6_PKS5_21rocsparse_index_base_b,@function
_ZN9rocsparseL16sddmm_ell_kernelILi512ELi2E21rocsparse_complex_numIdEiiS2_S2_S2_EEv20rocsparse_operation_S3_16rocsparse_order_S4_T3_S5_S5_T2_NS_24const_host_device_scalarIT1_EEPKT4_lPKT5_lS9_PT6_PKS5_21rocsparse_index_base_b: ; @_ZN9rocsparseL16sddmm_ell_kernelILi512ELi2E21rocsparse_complex_numIdEiiS2_S2_S2_EEv20rocsparse_operation_S3_16rocsparse_order_S4_T3_S5_S5_T2_NS_24const_host_device_scalarIT1_EEPKT4_lPKT5_lS9_PT6_PKS5_21rocsparse_index_base_b
; %bb.0:
	s_load_dwordx2 s[2:3], s[6:7], 0x70
	s_load_dwordx4 s[16:19], s[6:7], 0x20
	s_load_dwordx4 s[12:15], s[6:7], 0x48
	s_mov_b64 s[10:11], src_shared_base
	s_load_dwordx2 s[4:5], s[4:5], 0x4
	s_waitcnt lgkmcnt(0)
	s_bitcmp1_b32 s3, 0
	s_cselect_b64 s[0:1], -1, 0
	s_and_b64 vcc, s[0:1], exec
	s_cselect_b32 s3, s11, s17
	s_lshr_b32 s4, s4, 16
	v_and_b32_e32 v19, 0x3ff, v0
	s_mul_i32 s4, s4, s5
	v_mul_lo_u32 v1, s4, v19
	v_bfe_u32 v2, v0, 10, 10
	v_mad_u32_u24 v1, v2, s5, v1
	v_bfe_u32 v0, v0, 20, 10
	v_add_lshl_u32 v6, v1, v0, 3
	v_mov_b32_e32 v4, s16
	v_add_u32_e32 v5, 0x3000, v6
	v_pk_mov_b32 v[0:1], s[16:17], s[16:17] op_sel:[0,1]
	v_pk_mov_b32 v[2:3], s[14:15], s[14:15] op_sel:[0,1]
	ds_write2st64_b64 v6, v[2:3], v[0:1] offset0:16 offset1:24
	v_cndmask_b32_e64 v0, v4, v5, s[0:1]
	v_mov_b32_e32 v1, s3
	flat_load_dwordx2 v[4:5], v[0:1]
	s_load_dwordx2 s[4:5], s[6:7], 0x58
	s_xor_b64 s[20:21], s[0:1], -1
	v_add_u32_e32 v0, 0x2000, v6
	v_pk_mov_b32 v[6:7], s[18:19], s[18:19] op_sel:[0,1]
	s_cbranch_vccnz .LBB28_2
; %bb.1:
	v_pk_mov_b32 v[2:3], s[16:17], s[16:17] op_sel:[0,1]
	flat_load_dwordx2 v[6:7], v[2:3] offset:8
.LBB28_2:
	s_and_b64 s[16:17], s[0:1], exec
	s_cselect_b32 s3, s11, s15
	v_mov_b32_e32 v1, s14
	v_cndmask_b32_e64 v0, v1, v0, s[0:1]
	v_mov_b32_e32 v1, s3
	flat_load_dwordx2 v[8:9], v[0:1]
	s_andn2_b64 vcc, exec, s[20:21]
	s_waitcnt lgkmcnt(0)
	v_pk_mov_b32 v[10:11], s[4:5], s[4:5] op_sel:[0,1]
	s_cbranch_vccnz .LBB28_4
; %bb.3:
	v_pk_mov_b32 v[0:1], s[14:15], s[14:15] op_sel:[0,1]
	flat_load_dwordx2 v[10:11], v[0:1] offset:8
.LBB28_4:
	s_waitcnt vmcnt(0)
	v_cmp_eq_f64_e32 vcc, 0, v[4:5]
	v_cmp_eq_f64_e64 s[0:1], 0, v[6:7]
	s_and_b64 s[10:11], vcc, s[0:1]
	s_mov_b64 s[0:1], -1
	s_and_saveexec_b64 s[4:5], s[10:11]
	s_cbranch_execz .LBB28_6
; %bb.5:
	v_cmp_neq_f64_e32 vcc, 1.0, v[8:9]
	s_waitcnt lgkmcnt(0)
	v_cmp_neq_f64_e64 s[0:1], 0, v[10:11]
	s_or_b64 s[0:1], vcc, s[0:1]
	s_orn2_b64 s[0:1], s[0:1], exec
.LBB28_6:
	s_or_b64 exec, exec, s[4:5]
	s_and_saveexec_b64 s[4:5], s[0:1]
	s_cbranch_execz .LBB28_33
; %bb.7:
	s_load_dwordx2 s[4:5], s[6:7], 0x18
	v_lshrrev_b32_e32 v18, 1, v19
	v_lshl_or_b32 v12, s8, 8, v18
	s_waitcnt lgkmcnt(0)
	v_cmp_gt_i32_e32 vcc, s5, v12
	s_and_b64 exec, exec, vcc
	s_cbranch_execz .LBB28_33
; %bb.8:
	s_load_dwordx2 s[0:1], s[6:7], 0x68
	v_ashrrev_i32_e32 v13, 31, v12
	v_lshlrev_b64 v[0:1], 2, v[12:13]
	s_waitcnt lgkmcnt(0)
	v_mov_b32_e32 v2, s1
	v_add_co_u32_e32 v0, vcc, s0, v0
	v_addc_co_u32_e32 v1, vcc, v2, v1, vcc
	global_load_dword v0, v[0:1], off
	s_waitcnt vmcnt(0)
	v_subrev_u32_e32 v0, s2, v0
	v_cmp_lt_i32_e32 vcc, -1, v0
	s_and_b64 exec, exec, vcc
	s_cbranch_execz .LBB28_33
; %bb.9:
	s_load_dwordx4 s[0:3], s[6:7], 0x0
	s_load_dword s5, s[6:7], 0x10
	v_sub_u32_e32 v2, 0, v12
	v_max_i32_e32 v2, v12, v2
	s_load_dwordx2 s[14:15], s[6:7], 0x38
	s_waitcnt lgkmcnt(0)
	s_cmp_eq_u32 s2, 1
	s_cselect_b64 s[8:9], -1, 0
	s_cmpk_eq_i32 s0, 0x6f
	s_cselect_b64 s[10:11], -1, 0
	s_cmpk_lg_i32 s0, 0x6f
	s_cselect_b64 s[16:17], -1, 0
	s_abs_i32 s0, s5
	v_cvt_f32_u32_e32 v1, s0
	s_sub_i32 s5, 0, s0
	s_cmp_lg_u32 s2, 1
	v_rcp_iflag_f32_e32 v1, v1
	v_mul_f32_e32 v1, 0x4f7ffffe, v1
	v_cvt_u32_f32_e32 v1, v1
	v_mul_lo_u32 v3, s5, v1
	v_mul_hi_u32 v3, v1, v3
	v_add_u32_e32 v1, v1, v3
	v_mul_hi_u32 v1, v2, v1
	v_mul_lo_u32 v1, v1, s0
	v_sub_u32_e32 v1, v2, v1
	v_subrev_u32_e32 v2, s0, v1
	v_cmp_le_u32_e32 vcc, s0, v1
	v_cndmask_b32_e32 v1, v1, v2, vcc
	v_subrev_u32_e32 v2, s0, v1
	v_cmp_le_u32_e32 vcc, s0, v1
	v_cndmask_b32_e32 v1, v1, v2, vcc
	v_xor_b32_e32 v1, v1, v13
	v_sub_u32_e32 v2, v1, v13
	v_ashrrev_i32_e32 v3, 31, v2
	s_cbranch_scc0 .LBB28_13
; %bb.10:
	s_andn2_b64 vcc, exec, s[10:11]
	v_pk_mov_b32 v[14:15], v[2:3], v[2:3] op_sel:[0,1]
	s_cbranch_vccnz .LBB28_12
; %bb.11:
	v_mul_lo_u32 v1, v3, s14
	v_mul_lo_u32 v16, v2, s15
	v_mad_u64_u32 v[14:15], s[18:19], v2, s14, 0
	v_add3_u32 v15, v15, v16, v1
.LBB28_12:
	s_cbranch_execz .LBB28_14
	s_branch .LBB28_17
.LBB28_13:
                                        ; implicit-def: $vgpr14_vgpr15
.LBB28_14:
	s_andn2_b64 vcc, exec, s[16:17]
	s_cbranch_vccnz .LBB28_16
; %bb.15:
	v_mul_lo_u32 v1, v3, s14
	v_mul_lo_u32 v14, v2, s15
	v_mad_u64_u32 v[2:3], s[16:17], v2, s14, 0
	v_add3_u32 v3, v3, v14, v1
.LBB28_16:
	v_pk_mov_b32 v[14:15], v[2:3], v[2:3] op_sel:[0,1]
.LBB28_17:
	s_cmp_eq_u32 s3, 1
	s_cselect_b64 s[16:17], -1, 0
	s_cmpk_eq_i32 s1, 0x6f
	s_cselect_b64 s[18:19], -1, 0
	s_cmpk_lg_i32 s1, 0x6f
	s_cselect_b64 s[0:1], -1, 0
	s_cmp_lg_u32 s3, 1
	v_mov_b32_e32 v1, 0
	s_cbranch_scc0 .LBB28_21
; %bb.18:
	s_andn2_b64 vcc, exec, s[0:1]
	v_pk_mov_b32 v[16:17], v[0:1], v[0:1] op_sel:[0,1]
	s_cbranch_vccnz .LBB28_20
; %bb.19:
	v_mad_u64_u32 v[16:17], s[0:1], v0, s12, 0
	v_mov_b32_e32 v2, v17
	v_mad_u64_u32 v[2:3], s[0:1], v0, s13, v[2:3]
	v_mov_b32_e32 v17, v2
.LBB28_20:
	s_cbranch_execz .LBB28_22
	s_branch .LBB28_25
.LBB28_21:
                                        ; implicit-def: $vgpr16_vgpr17
.LBB28_22:
	s_andn2_b64 vcc, exec, s[18:19]
	s_cbranch_vccnz .LBB28_24
; %bb.23:
	v_mad_u64_u32 v[2:3], s[0:1], v0, s12, 0
	v_mov_b32_e32 v16, v3
	v_mad_u64_u32 v[0:1], s[0:1], v0, s13, v[16:17]
	v_mov_b32_e32 v3, v0
	v_pk_mov_b32 v[0:1], v[2:3], v[2:3] op_sel:[0,1]
.LBB28_24:
	v_pk_mov_b32 v[16:17], v[0:1], v[0:1] op_sel:[0,1]
.LBB28_25:
	s_load_dwordx2 s[0:1], s[6:7], 0x60
	v_and_b32_e32 v20, 1, v19
	v_pk_mov_b32 v[2:3], 0, 0
	v_cmp_gt_i32_e32 vcc, s4, v20
	v_pk_mov_b32 v[0:1], v[2:3], v[2:3] op_sel:[0,1]
	s_and_saveexec_b64 s[2:3], vcc
	s_cbranch_execz .LBB28_29
; %bb.26:
	s_load_dwordx2 s[20:21], s[6:7], 0x30
	s_load_dwordx2 s[22:23], s[6:7], 0x40
	s_xor_b64 s[6:7], s[10:11], s[8:9]
	s_and_b64 s[6:7], s[6:7], exec
	s_cselect_b32 s9, 0, s15
	s_cselect_b32 s8, 1, s14
	s_xor_b64 s[6:7], s[18:19], s[16:17]
	s_and_b64 s[6:7], s[6:7], exec
	s_cselect_b32 s7, s13, 0
	s_cselect_b32 s6, s12, 1
	v_and_b32_e32 v19, 1, v19
	v_mul_lo_u32 v1, s7, v19
	v_mul_lo_u32 v0, s6, v19
	v_lshlrev_b64 v[0:1], 4, v[0:1]
	v_lshlrev_b64 v[2:3], 4, v[16:17]
	v_add_co_u32_e32 v0, vcc, v0, v2
	v_addc_co_u32_e32 v1, vcc, v1, v3, vcc
	s_waitcnt lgkmcnt(0)
	v_mov_b32_e32 v2, s23
	v_add_co_u32_e32 v0, vcc, s22, v0
	v_addc_co_u32_e32 v1, vcc, v1, v2, vcc
	v_add_co_u32_e32 v16, vcc, 8, v0
	v_addc_co_u32_e32 v17, vcc, 0, v1, vcc
	v_mul_lo_u32 v1, s9, v19
	v_mul_lo_u32 v0, s8, v19
	v_lshlrev_b64 v[0:1], 4, v[0:1]
	v_lshlrev_b64 v[2:3], 4, v[14:15]
	v_add_co_u32_e32 v0, vcc, v0, v2
	v_addc_co_u32_e32 v1, vcc, v1, v3, vcc
	v_mov_b32_e32 v2, s21
	v_add_co_u32_e32 v0, vcc, s20, v0
	v_addc_co_u32_e32 v1, vcc, v1, v2, vcc
	s_lshl_b64 s[6:7], s[6:7], 5
	v_add_co_u32_e32 v14, vcc, 8, v0
	s_lshl_b64 s[10:11], s[8:9], 5
	v_pk_mov_b32 v[2:3], 0, 0
	v_addc_co_u32_e32 v15, vcc, 0, v1, vcc
	s_mov_b64 s[8:9], 0
	v_mov_b32_e32 v19, s7
	v_mov_b32_e32 v21, s11
	;; [unrolled: 1-line block ×3, first 2 shown]
	v_pk_mov_b32 v[0:1], v[2:3], v[2:3] op_sel:[0,1]
.LBB28_27:                              ; =>This Inner Loop Header: Depth=1
	global_load_dwordx4 v[24:27], v[16:17], off offset:-8
	global_load_dwordx4 v[28:31], v[14:15], off offset:-8
	v_add_co_u32_e32 v16, vcc, s6, v16
	v_addc_co_u32_e32 v17, vcc, v17, v19, vcc
	v_add_co_u32_e32 v14, vcc, s10, v14
	v_add_u32_e32 v22, 2, v22
	v_addc_co_u32_e32 v15, vcc, v15, v21, vcc
	v_cmp_le_i32_e32 vcc, s4, v22
	s_or_b64 s[8:9], vcc, s[8:9]
	s_waitcnt vmcnt(0)
	v_mul_f64 v[32:33], v[26:27], -v[30:31]
	v_mul_f64 v[26:27], v[26:27], v[28:29]
	v_fmac_f64_e32 v[32:33], v[28:29], v[24:25]
	v_fmac_f64_e32 v[26:27], v[30:31], v[24:25]
	v_add_f64 v[0:1], v[0:1], v[32:33]
	v_add_f64 v[2:3], v[2:3], v[26:27]
	s_andn2_b64 exec, exec, s[8:9]
	s_cbranch_execnz .LBB28_27
; %bb.28:
	s_or_b64 exec, exec, s[8:9]
.LBB28_29:
	s_or_b64 exec, exec, s[2:3]
	v_lshlrev_b32_e32 v14, 5, v18
	v_lshl_or_b32 v15, v20, 4, v14
	v_cmp_eq_u32_e32 vcc, 0, v20
	ds_write_b128 v15, v[0:3]
	s_waitcnt lgkmcnt(0)
	s_barrier
	s_and_saveexec_b64 s[2:3], vcc
	s_cbranch_execz .LBB28_31
; %bb.30:
	ds_read_b128 v[0:3], v14 offset:16
	ds_read_b128 v[16:19], v15
	s_waitcnt lgkmcnt(0)
	v_add_f64 v[0:1], v[0:1], v[16:17]
	v_add_f64 v[2:3], v[2:3], v[18:19]
	ds_write_b128 v15, v[0:3]
.LBB28_31:
	s_or_b64 exec, exec, s[2:3]
	s_waitcnt lgkmcnt(0)
	s_barrier
	s_and_b64 exec, exec, vcc
	s_cbranch_execz .LBB28_33
; %bb.32:
	v_lshlrev_b64 v[0:1], 4, v[12:13]
	v_mov_b32_e32 v2, s1
	v_add_co_u32_e32 v16, vcc, s0, v0
	v_addc_co_u32_e32 v17, vcc, v2, v1, vcc
	global_load_dwordx4 v[0:3], v[16:17], off
	ds_read_b128 v[12:15], v14
	s_waitcnt lgkmcnt(0)
	v_mul_f64 v[18:19], v[14:15], -v[6:7]
	v_mul_f64 v[14:15], v[4:5], v[14:15]
	v_fmac_f64_e32 v[18:19], v[4:5], v[12:13]
	v_fmac_f64_e32 v[14:15], v[6:7], v[12:13]
	s_waitcnt vmcnt(0)
	v_mul_f64 v[4:5], v[10:11], -v[2:3]
	v_mul_f64 v[6:7], v[10:11], v[0:1]
	v_fmac_f64_e32 v[4:5], v[0:1], v[8:9]
	v_fmac_f64_e32 v[6:7], v[2:3], v[8:9]
	v_add_f64 v[0:1], v[4:5], v[18:19]
	v_add_f64 v[2:3], v[6:7], v[14:15]
	global_store_dwordx4 v[16:17], v[0:3], off
.LBB28_33:
	s_endpgm
	.section	.rodata,"a",@progbits
	.p2align	6, 0x0
	.amdhsa_kernel _ZN9rocsparseL16sddmm_ell_kernelILi512ELi2E21rocsparse_complex_numIdEiiS2_S2_S2_EEv20rocsparse_operation_S3_16rocsparse_order_S4_T3_S5_S5_T2_NS_24const_host_device_scalarIT1_EEPKT4_lPKT5_lS9_PT6_PKS5_21rocsparse_index_base_b
		.amdhsa_group_segment_fixed_size 16384
		.amdhsa_private_segment_fixed_size 0
		.amdhsa_kernarg_size 120
		.amdhsa_user_sgpr_count 8
		.amdhsa_user_sgpr_private_segment_buffer 1
		.amdhsa_user_sgpr_dispatch_ptr 1
		.amdhsa_user_sgpr_queue_ptr 0
		.amdhsa_user_sgpr_kernarg_segment_ptr 1
		.amdhsa_user_sgpr_dispatch_id 0
		.amdhsa_user_sgpr_flat_scratch_init 0
		.amdhsa_user_sgpr_kernarg_preload_length 0
		.amdhsa_user_sgpr_kernarg_preload_offset 0
		.amdhsa_user_sgpr_private_segment_size 0
		.amdhsa_uses_dynamic_stack 0
		.amdhsa_system_sgpr_private_segment_wavefront_offset 0
		.amdhsa_system_sgpr_workgroup_id_x 1
		.amdhsa_system_sgpr_workgroup_id_y 0
		.amdhsa_system_sgpr_workgroup_id_z 0
		.amdhsa_system_sgpr_workgroup_info 0
		.amdhsa_system_vgpr_workitem_id 2
		.amdhsa_next_free_vgpr 34
		.amdhsa_next_free_sgpr 24
		.amdhsa_accum_offset 36
		.amdhsa_reserve_vcc 1
		.amdhsa_reserve_flat_scratch 0
		.amdhsa_float_round_mode_32 0
		.amdhsa_float_round_mode_16_64 0
		.amdhsa_float_denorm_mode_32 3
		.amdhsa_float_denorm_mode_16_64 3
		.amdhsa_dx10_clamp 1
		.amdhsa_ieee_mode 1
		.amdhsa_fp16_overflow 0
		.amdhsa_tg_split 0
		.amdhsa_exception_fp_ieee_invalid_op 0
		.amdhsa_exception_fp_denorm_src 0
		.amdhsa_exception_fp_ieee_div_zero 0
		.amdhsa_exception_fp_ieee_overflow 0
		.amdhsa_exception_fp_ieee_underflow 0
		.amdhsa_exception_fp_ieee_inexact 0
		.amdhsa_exception_int_div_zero 0
	.end_amdhsa_kernel
	.section	.text._ZN9rocsparseL16sddmm_ell_kernelILi512ELi2E21rocsparse_complex_numIdEiiS2_S2_S2_EEv20rocsparse_operation_S3_16rocsparse_order_S4_T3_S5_S5_T2_NS_24const_host_device_scalarIT1_EEPKT4_lPKT5_lS9_PT6_PKS5_21rocsparse_index_base_b,"axG",@progbits,_ZN9rocsparseL16sddmm_ell_kernelILi512ELi2E21rocsparse_complex_numIdEiiS2_S2_S2_EEv20rocsparse_operation_S3_16rocsparse_order_S4_T3_S5_S5_T2_NS_24const_host_device_scalarIT1_EEPKT4_lPKT5_lS9_PT6_PKS5_21rocsparse_index_base_b,comdat
.Lfunc_end28:
	.size	_ZN9rocsparseL16sddmm_ell_kernelILi512ELi2E21rocsparse_complex_numIdEiiS2_S2_S2_EEv20rocsparse_operation_S3_16rocsparse_order_S4_T3_S5_S5_T2_NS_24const_host_device_scalarIT1_EEPKT4_lPKT5_lS9_PT6_PKS5_21rocsparse_index_base_b, .Lfunc_end28-_ZN9rocsparseL16sddmm_ell_kernelILi512ELi2E21rocsparse_complex_numIdEiiS2_S2_S2_EEv20rocsparse_operation_S3_16rocsparse_order_S4_T3_S5_S5_T2_NS_24const_host_device_scalarIT1_EEPKT4_lPKT5_lS9_PT6_PKS5_21rocsparse_index_base_b
                                        ; -- End function
	.section	.AMDGPU.csdata,"",@progbits
; Kernel info:
; codeLenInByte = 1444
; NumSgprs: 28
; NumVgprs: 34
; NumAgprs: 0
; TotalNumVgprs: 34
; ScratchSize: 0
; MemoryBound: 0
; FloatMode: 240
; IeeeMode: 1
; LDSByteSize: 16384 bytes/workgroup (compile time only)
; SGPRBlocks: 3
; VGPRBlocks: 4
; NumSGPRsForWavesPerEU: 28
; NumVGPRsForWavesPerEU: 34
; AccumOffset: 36
; Occupancy: 8
; WaveLimiterHint : 0
; COMPUTE_PGM_RSRC2:SCRATCH_EN: 0
; COMPUTE_PGM_RSRC2:USER_SGPR: 8
; COMPUTE_PGM_RSRC2:TRAP_HANDLER: 0
; COMPUTE_PGM_RSRC2:TGID_X_EN: 1
; COMPUTE_PGM_RSRC2:TGID_Y_EN: 0
; COMPUTE_PGM_RSRC2:TGID_Z_EN: 0
; COMPUTE_PGM_RSRC2:TIDIG_COMP_CNT: 2
; COMPUTE_PGM_RSRC3_GFX90A:ACCUM_OFFSET: 8
; COMPUTE_PGM_RSRC3_GFX90A:TG_SPLIT: 0
	.section	.text._ZN9rocsparseL16sddmm_ell_kernelILi512ELi1E21rocsparse_complex_numIdEiiS2_S2_S2_EEv20rocsparse_operation_S3_16rocsparse_order_S4_T3_S5_S5_T2_NS_24const_host_device_scalarIT1_EEPKT4_lPKT5_lS9_PT6_PKS5_21rocsparse_index_base_b,"axG",@progbits,_ZN9rocsparseL16sddmm_ell_kernelILi512ELi1E21rocsparse_complex_numIdEiiS2_S2_S2_EEv20rocsparse_operation_S3_16rocsparse_order_S4_T3_S5_S5_T2_NS_24const_host_device_scalarIT1_EEPKT4_lPKT5_lS9_PT6_PKS5_21rocsparse_index_base_b,comdat
	.globl	_ZN9rocsparseL16sddmm_ell_kernelILi512ELi1E21rocsparse_complex_numIdEiiS2_S2_S2_EEv20rocsparse_operation_S3_16rocsparse_order_S4_T3_S5_S5_T2_NS_24const_host_device_scalarIT1_EEPKT4_lPKT5_lS9_PT6_PKS5_21rocsparse_index_base_b ; -- Begin function _ZN9rocsparseL16sddmm_ell_kernelILi512ELi1E21rocsparse_complex_numIdEiiS2_S2_S2_EEv20rocsparse_operation_S3_16rocsparse_order_S4_T3_S5_S5_T2_NS_24const_host_device_scalarIT1_EEPKT4_lPKT5_lS9_PT6_PKS5_21rocsparse_index_base_b
	.p2align	8
	.type	_ZN9rocsparseL16sddmm_ell_kernelILi512ELi1E21rocsparse_complex_numIdEiiS2_S2_S2_EEv20rocsparse_operation_S3_16rocsparse_order_S4_T3_S5_S5_T2_NS_24const_host_device_scalarIT1_EEPKT4_lPKT5_lS9_PT6_PKS5_21rocsparse_index_base_b,@function
_ZN9rocsparseL16sddmm_ell_kernelILi512ELi1E21rocsparse_complex_numIdEiiS2_S2_S2_EEv20rocsparse_operation_S3_16rocsparse_order_S4_T3_S5_S5_T2_NS_24const_host_device_scalarIT1_EEPKT4_lPKT5_lS9_PT6_PKS5_21rocsparse_index_base_b: ; @_ZN9rocsparseL16sddmm_ell_kernelILi512ELi1E21rocsparse_complex_numIdEiiS2_S2_S2_EEv20rocsparse_operation_S3_16rocsparse_order_S4_T3_S5_S5_T2_NS_24const_host_device_scalarIT1_EEPKT4_lPKT5_lS9_PT6_PKS5_21rocsparse_index_base_b
; %bb.0:
	s_load_dwordx2 s[2:3], s[6:7], 0x70
	s_load_dwordx4 s[16:19], s[6:7], 0x20
	s_load_dwordx4 s[12:15], s[6:7], 0x48
	s_mov_b64 s[10:11], src_shared_base
	s_load_dwordx2 s[4:5], s[4:5], 0x4
	s_waitcnt lgkmcnt(0)
	s_bitcmp1_b32 s3, 0
	s_cselect_b64 s[0:1], -1, 0
	s_and_b64 vcc, s[0:1], exec
	s_cselect_b32 s3, s11, s17
	s_lshr_b32 s4, s4, 16
	v_and_b32_e32 v18, 0x3ff, v0
	s_mul_i32 s4, s4, s5
	v_mul_lo_u32 v1, s4, v18
	v_bfe_u32 v2, v0, 10, 10
	v_mad_u32_u24 v1, v2, s5, v1
	v_bfe_u32 v0, v0, 20, 10
	v_add_lshl_u32 v6, v1, v0, 3
	v_mov_b32_e32 v4, s16
	v_add_u32_e32 v5, 0x3000, v6
	v_pk_mov_b32 v[0:1], s[16:17], s[16:17] op_sel:[0,1]
	v_pk_mov_b32 v[2:3], s[14:15], s[14:15] op_sel:[0,1]
	ds_write2st64_b64 v6, v[2:3], v[0:1] offset0:16 offset1:24
	v_cndmask_b32_e64 v0, v4, v5, s[0:1]
	v_mov_b32_e32 v1, s3
	flat_load_dwordx2 v[4:5], v[0:1]
	s_load_dwordx2 s[4:5], s[6:7], 0x58
	s_xor_b64 s[20:21], s[0:1], -1
	v_add_u32_e32 v0, 0x2000, v6
	v_pk_mov_b32 v[6:7], s[18:19], s[18:19] op_sel:[0,1]
	s_cbranch_vccnz .LBB29_2
; %bb.1:
	v_pk_mov_b32 v[2:3], s[16:17], s[16:17] op_sel:[0,1]
	flat_load_dwordx2 v[6:7], v[2:3] offset:8
.LBB29_2:
	s_and_b64 s[16:17], s[0:1], exec
	s_cselect_b32 s3, s11, s15
	v_mov_b32_e32 v1, s14
	v_cndmask_b32_e64 v0, v1, v0, s[0:1]
	v_mov_b32_e32 v1, s3
	flat_load_dwordx2 v[8:9], v[0:1]
	s_andn2_b64 vcc, exec, s[20:21]
	s_waitcnt lgkmcnt(0)
	v_pk_mov_b32 v[10:11], s[4:5], s[4:5] op_sel:[0,1]
	s_cbranch_vccnz .LBB29_4
; %bb.3:
	v_pk_mov_b32 v[0:1], s[14:15], s[14:15] op_sel:[0,1]
	flat_load_dwordx2 v[10:11], v[0:1] offset:8
.LBB29_4:
	s_waitcnt vmcnt(0)
	v_cmp_eq_f64_e32 vcc, 0, v[4:5]
	v_cmp_eq_f64_e64 s[0:1], 0, v[6:7]
	s_and_b64 s[10:11], vcc, s[0:1]
	s_mov_b64 s[0:1], -1
	s_and_saveexec_b64 s[4:5], s[10:11]
	s_cbranch_execz .LBB29_6
; %bb.5:
	v_cmp_neq_f64_e32 vcc, 1.0, v[8:9]
	s_waitcnt lgkmcnt(0)
	v_cmp_neq_f64_e64 s[0:1], 0, v[10:11]
	s_or_b64 s[0:1], vcc, s[0:1]
	s_orn2_b64 s[0:1], s[0:1], exec
.LBB29_6:
	s_or_b64 exec, exec, s[4:5]
	s_and_saveexec_b64 s[4:5], s[0:1]
	s_cbranch_execz .LBB29_29
; %bb.7:
	s_load_dwordx2 s[4:5], s[6:7], 0x18
	v_lshl_or_b32 v12, s8, 9, v18
	s_waitcnt lgkmcnt(0)
	v_cmp_gt_i32_e32 vcc, s5, v12
	s_and_b64 exec, exec, vcc
	s_cbranch_execz .LBB29_29
; %bb.8:
	s_load_dwordx2 s[0:1], s[6:7], 0x68
	v_ashrrev_i32_e32 v13, 31, v12
	v_lshlrev_b64 v[0:1], 2, v[12:13]
	s_waitcnt lgkmcnt(0)
	v_mov_b32_e32 v2, s1
	v_add_co_u32_e32 v0, vcc, s0, v0
	v_addc_co_u32_e32 v1, vcc, v2, v1, vcc
	global_load_dword v0, v[0:1], off
	s_waitcnt vmcnt(0)
	v_subrev_u32_e32 v0, s2, v0
	v_cmp_lt_i32_e32 vcc, -1, v0
	s_and_b64 exec, exec, vcc
	s_cbranch_execz .LBB29_29
; %bb.9:
	s_load_dwordx4 s[0:3], s[6:7], 0x0
	s_load_dword s5, s[6:7], 0x10
	v_sub_u32_e32 v2, 0, v12
	v_max_i32_e32 v2, v12, v2
	s_load_dwordx2 s[14:15], s[6:7], 0x38
	s_waitcnt lgkmcnt(0)
	s_cmp_eq_u32 s2, 1
	s_cselect_b64 s[8:9], -1, 0
	s_cmpk_eq_i32 s0, 0x6f
	s_cselect_b64 s[10:11], -1, 0
	s_cmpk_lg_i32 s0, 0x6f
	s_cselect_b64 s[16:17], -1, 0
	s_abs_i32 s0, s5
	v_cvt_f32_u32_e32 v1, s0
	s_sub_i32 s5, 0, s0
	s_cmp_lg_u32 s2, 1
	v_rcp_iflag_f32_e32 v1, v1
	v_mul_f32_e32 v1, 0x4f7ffffe, v1
	v_cvt_u32_f32_e32 v1, v1
	v_mul_lo_u32 v3, s5, v1
	v_mul_hi_u32 v3, v1, v3
	v_add_u32_e32 v1, v1, v3
	v_mul_hi_u32 v1, v2, v1
	v_mul_lo_u32 v1, v1, s0
	v_sub_u32_e32 v1, v2, v1
	v_subrev_u32_e32 v2, s0, v1
	v_cmp_le_u32_e32 vcc, s0, v1
	v_cndmask_b32_e32 v1, v1, v2, vcc
	v_subrev_u32_e32 v2, s0, v1
	v_cmp_le_u32_e32 vcc, s0, v1
	v_cndmask_b32_e32 v1, v1, v2, vcc
	v_xor_b32_e32 v1, v1, v13
	v_sub_u32_e32 v2, v1, v13
	v_ashrrev_i32_e32 v3, 31, v2
	s_cbranch_scc0 .LBB29_13
; %bb.10:
	s_andn2_b64 vcc, exec, s[10:11]
	v_pk_mov_b32 v[14:15], v[2:3], v[2:3] op_sel:[0,1]
	s_cbranch_vccnz .LBB29_12
; %bb.11:
	v_mul_lo_u32 v1, v3, s14
	v_mul_lo_u32 v16, v2, s15
	v_mad_u64_u32 v[14:15], s[18:19], v2, s14, 0
	v_add3_u32 v15, v15, v16, v1
.LBB29_12:
	s_cbranch_execz .LBB29_14
	s_branch .LBB29_17
.LBB29_13:
                                        ; implicit-def: $vgpr14_vgpr15
.LBB29_14:
	s_andn2_b64 vcc, exec, s[16:17]
	s_cbranch_vccnz .LBB29_16
; %bb.15:
	v_mul_lo_u32 v1, v3, s14
	v_mul_lo_u32 v14, v2, s15
	v_mad_u64_u32 v[2:3], s[16:17], v2, s14, 0
	v_add3_u32 v3, v3, v14, v1
.LBB29_16:
	v_pk_mov_b32 v[14:15], v[2:3], v[2:3] op_sel:[0,1]
.LBB29_17:
	s_cmp_eq_u32 s3, 1
	s_cselect_b64 s[16:17], -1, 0
	s_cmpk_eq_i32 s1, 0x6f
	s_cselect_b64 s[18:19], -1, 0
	s_cmpk_lg_i32 s1, 0x6f
	s_cselect_b64 s[0:1], -1, 0
	s_cmp_lg_u32 s3, 1
	v_mov_b32_e32 v1, 0
	s_cbranch_scc0 .LBB29_21
; %bb.18:
	s_andn2_b64 vcc, exec, s[0:1]
	v_pk_mov_b32 v[16:17], v[0:1], v[0:1] op_sel:[0,1]
	s_cbranch_vccnz .LBB29_20
; %bb.19:
	v_mad_u64_u32 v[16:17], s[0:1], v0, s12, 0
	v_mov_b32_e32 v2, v17
	v_mad_u64_u32 v[2:3], s[0:1], v0, s13, v[2:3]
	v_mov_b32_e32 v17, v2
.LBB29_20:
	s_cbranch_execz .LBB29_22
	s_branch .LBB29_25
.LBB29_21:
                                        ; implicit-def: $vgpr16_vgpr17
.LBB29_22:
	s_andn2_b64 vcc, exec, s[18:19]
	s_cbranch_vccnz .LBB29_24
; %bb.23:
	v_mad_u64_u32 v[2:3], s[0:1], v0, s12, 0
	v_mov_b32_e32 v16, v3
	v_mad_u64_u32 v[0:1], s[0:1], v0, s13, v[16:17]
	v_mov_b32_e32 v3, v0
	v_pk_mov_b32 v[0:1], v[2:3], v[2:3] op_sel:[0,1]
.LBB29_24:
	v_pk_mov_b32 v[16:17], v[0:1], v[0:1] op_sel:[0,1]
.LBB29_25:
	s_load_dwordx2 s[0:1], s[6:7], 0x60
	v_pk_mov_b32 v[2:3], 0, 0
	s_cmp_lt_i32 s4, 1
	v_pk_mov_b32 v[0:1], v[2:3], v[2:3] op_sel:[0,1]
	s_cbranch_scc1 .LBB29_28
; %bb.26:
	s_load_dwordx2 s[2:3], s[6:7], 0x30
	s_load_dwordx2 s[20:21], s[6:7], 0x40
	v_lshlrev_b64 v[0:1], 4, v[14:15]
	s_xor_b64 s[6:7], s[10:11], s[8:9]
	s_and_b64 s[6:7], s[6:7], exec
	s_waitcnt lgkmcnt(0)
	v_mov_b32_e32 v2, s3
	v_add_co_u32_e32 v0, vcc, s2, v0
	v_addc_co_u32_e32 v1, vcc, v1, v2, vcc
	v_add_co_u32_e32 v14, vcc, 8, v0
	s_cselect_b32 s7, 0, s15
	s_cselect_b32 s6, 1, s14
	s_xor_b64 s[8:9], s[18:19], s[16:17]
	v_addc_co_u32_e32 v15, vcc, 0, v1, vcc
	v_lshlrev_b64 v[0:1], 4, v[16:17]
	s_and_b64 s[8:9], s[8:9], exec
	v_mov_b32_e32 v2, s21
	v_add_co_u32_e32 v0, vcc, s20, v0
	s_cselect_b32 s9, s13, 0
	s_cselect_b32 s8, s12, 1
	v_addc_co_u32_e32 v1, vcc, v1, v2, vcc
	s_lshl_b64 s[2:3], s[6:7], 4
	v_add_co_u32_e32 v16, vcc, 8, v0
	s_lshl_b64 s[6:7], s[8:9], 4
	v_pk_mov_b32 v[2:3], 0, 0
	v_addc_co_u32_e32 v17, vcc, 0, v1, vcc
	v_mov_b32_e32 v19, s3
	v_mov_b32_e32 v20, s7
	v_pk_mov_b32 v[0:1], v[2:3], v[2:3] op_sel:[0,1]
.LBB29_27:                              ; =>This Inner Loop Header: Depth=1
	global_load_dwordx4 v[22:25], v[16:17], off offset:-8
	global_load_dwordx4 v[26:29], v[14:15], off offset:-8
	v_add_co_u32_e32 v14, vcc, s2, v14
	v_addc_co_u32_e32 v15, vcc, v15, v19, vcc
	s_add_i32 s4, s4, -1
	v_add_co_u32_e32 v16, vcc, s6, v16
	v_addc_co_u32_e32 v17, vcc, v17, v20, vcc
	s_cmp_eq_u32 s4, 0
	s_waitcnt vmcnt(0)
	v_mul_f64 v[30:31], v[24:25], -v[28:29]
	v_mul_f64 v[24:25], v[24:25], v[26:27]
	v_fmac_f64_e32 v[30:31], v[26:27], v[22:23]
	v_fmac_f64_e32 v[24:25], v[28:29], v[22:23]
	v_add_f64 v[0:1], v[0:1], v[30:31]
	v_add_f64 v[2:3], v[2:3], v[24:25]
	s_cbranch_scc0 .LBB29_27
.LBB29_28:
	v_lshlrev_b32_e32 v14, 4, v18
	ds_write_b128 v14, v[0:3]
	v_lshlrev_b64 v[0:1], 4, v[12:13]
	s_waitcnt lgkmcnt(0)
	v_mov_b32_e32 v2, s1
	v_add_co_u32_e32 v16, vcc, s0, v0
	v_addc_co_u32_e32 v17, vcc, v2, v1, vcc
	s_barrier
	global_load_dwordx4 v[0:3], v[16:17], off
	ds_read_b128 v[12:15], v14
	s_waitcnt lgkmcnt(0)
	v_mul_f64 v[18:19], v[14:15], -v[6:7]
	v_mul_f64 v[14:15], v[4:5], v[14:15]
	v_fmac_f64_e32 v[18:19], v[4:5], v[12:13]
	v_fmac_f64_e32 v[14:15], v[6:7], v[12:13]
	s_waitcnt vmcnt(0)
	v_mul_f64 v[4:5], v[10:11], -v[2:3]
	v_mul_f64 v[6:7], v[10:11], v[0:1]
	v_fmac_f64_e32 v[4:5], v[0:1], v[8:9]
	v_fmac_f64_e32 v[6:7], v[2:3], v[8:9]
	v_add_f64 v[0:1], v[4:5], v[18:19]
	v_add_f64 v[2:3], v[6:7], v[14:15]
	global_store_dwordx4 v[16:17], v[0:3], off
.LBB29_29:
	s_endpgm
	.section	.rodata,"a",@progbits
	.p2align	6, 0x0
	.amdhsa_kernel _ZN9rocsparseL16sddmm_ell_kernelILi512ELi1E21rocsparse_complex_numIdEiiS2_S2_S2_EEv20rocsparse_operation_S3_16rocsparse_order_S4_T3_S5_S5_T2_NS_24const_host_device_scalarIT1_EEPKT4_lPKT5_lS9_PT6_PKS5_21rocsparse_index_base_b
		.amdhsa_group_segment_fixed_size 16384
		.amdhsa_private_segment_fixed_size 0
		.amdhsa_kernarg_size 120
		.amdhsa_user_sgpr_count 8
		.amdhsa_user_sgpr_private_segment_buffer 1
		.amdhsa_user_sgpr_dispatch_ptr 1
		.amdhsa_user_sgpr_queue_ptr 0
		.amdhsa_user_sgpr_kernarg_segment_ptr 1
		.amdhsa_user_sgpr_dispatch_id 0
		.amdhsa_user_sgpr_flat_scratch_init 0
		.amdhsa_user_sgpr_kernarg_preload_length 0
		.amdhsa_user_sgpr_kernarg_preload_offset 0
		.amdhsa_user_sgpr_private_segment_size 0
		.amdhsa_uses_dynamic_stack 0
		.amdhsa_system_sgpr_private_segment_wavefront_offset 0
		.amdhsa_system_sgpr_workgroup_id_x 1
		.amdhsa_system_sgpr_workgroup_id_y 0
		.amdhsa_system_sgpr_workgroup_id_z 0
		.amdhsa_system_sgpr_workgroup_info 0
		.amdhsa_system_vgpr_workitem_id 2
		.amdhsa_next_free_vgpr 32
		.amdhsa_next_free_sgpr 22
		.amdhsa_accum_offset 32
		.amdhsa_reserve_vcc 1
		.amdhsa_reserve_flat_scratch 0
		.amdhsa_float_round_mode_32 0
		.amdhsa_float_round_mode_16_64 0
		.amdhsa_float_denorm_mode_32 3
		.amdhsa_float_denorm_mode_16_64 3
		.amdhsa_dx10_clamp 1
		.amdhsa_ieee_mode 1
		.amdhsa_fp16_overflow 0
		.amdhsa_tg_split 0
		.amdhsa_exception_fp_ieee_invalid_op 0
		.amdhsa_exception_fp_denorm_src 0
		.amdhsa_exception_fp_ieee_div_zero 0
		.amdhsa_exception_fp_ieee_overflow 0
		.amdhsa_exception_fp_ieee_underflow 0
		.amdhsa_exception_fp_ieee_inexact 0
		.amdhsa_exception_int_div_zero 0
	.end_amdhsa_kernel
	.section	.text._ZN9rocsparseL16sddmm_ell_kernelILi512ELi1E21rocsparse_complex_numIdEiiS2_S2_S2_EEv20rocsparse_operation_S3_16rocsparse_order_S4_T3_S5_S5_T2_NS_24const_host_device_scalarIT1_EEPKT4_lPKT5_lS9_PT6_PKS5_21rocsparse_index_base_b,"axG",@progbits,_ZN9rocsparseL16sddmm_ell_kernelILi512ELi1E21rocsparse_complex_numIdEiiS2_S2_S2_EEv20rocsparse_operation_S3_16rocsparse_order_S4_T3_S5_S5_T2_NS_24const_host_device_scalarIT1_EEPKT4_lPKT5_lS9_PT6_PKS5_21rocsparse_index_base_b,comdat
.Lfunc_end29:
	.size	_ZN9rocsparseL16sddmm_ell_kernelILi512ELi1E21rocsparse_complex_numIdEiiS2_S2_S2_EEv20rocsparse_operation_S3_16rocsparse_order_S4_T3_S5_S5_T2_NS_24const_host_device_scalarIT1_EEPKT4_lPKT5_lS9_PT6_PKS5_21rocsparse_index_base_b, .Lfunc_end29-_ZN9rocsparseL16sddmm_ell_kernelILi512ELi1E21rocsparse_complex_numIdEiiS2_S2_S2_EEv20rocsparse_operation_S3_16rocsparse_order_S4_T3_S5_S5_T2_NS_24const_host_device_scalarIT1_EEPKT4_lPKT5_lS9_PT6_PKS5_21rocsparse_index_base_b
                                        ; -- End function
	.section	.AMDGPU.csdata,"",@progbits
; Kernel info:
; codeLenInByte = 1256
; NumSgprs: 26
; NumVgprs: 32
; NumAgprs: 0
; TotalNumVgprs: 32
; ScratchSize: 0
; MemoryBound: 0
; FloatMode: 240
; IeeeMode: 1
; LDSByteSize: 16384 bytes/workgroup (compile time only)
; SGPRBlocks: 3
; VGPRBlocks: 3
; NumSGPRsForWavesPerEU: 26
; NumVGPRsForWavesPerEU: 32
; AccumOffset: 32
; Occupancy: 8
; WaveLimiterHint : 0
; COMPUTE_PGM_RSRC2:SCRATCH_EN: 0
; COMPUTE_PGM_RSRC2:USER_SGPR: 8
; COMPUTE_PGM_RSRC2:TRAP_HANDLER: 0
; COMPUTE_PGM_RSRC2:TGID_X_EN: 1
; COMPUTE_PGM_RSRC2:TGID_Y_EN: 0
; COMPUTE_PGM_RSRC2:TGID_Z_EN: 0
; COMPUTE_PGM_RSRC2:TIDIG_COMP_CNT: 2
; COMPUTE_PGM_RSRC3_GFX90A:ACCUM_OFFSET: 7
; COMPUTE_PGM_RSRC3_GFX90A:TG_SPLIT: 0
	.section	.text._ZN9rocsparseL23sddmm_ell_sample_kernelILi16ELi32EDF16_lDF16_EEvT2_S1_PKT3_lS1_PS2_PKS1_21rocsparse_index_base_,"axG",@progbits,_ZN9rocsparseL23sddmm_ell_sample_kernelILi16ELi32EDF16_lDF16_EEvT2_S1_PKT3_lS1_PS2_PKS1_21rocsparse_index_base_,comdat
	.globl	_ZN9rocsparseL23sddmm_ell_sample_kernelILi16ELi32EDF16_lDF16_EEvT2_S1_PKT3_lS1_PS2_PKS1_21rocsparse_index_base_ ; -- Begin function _ZN9rocsparseL23sddmm_ell_sample_kernelILi16ELi32EDF16_lDF16_EEvT2_S1_PKT3_lS1_PS2_PKS1_21rocsparse_index_base_
	.p2align	8
	.type	_ZN9rocsparseL23sddmm_ell_sample_kernelILi16ELi32EDF16_lDF16_EEvT2_S1_PKT3_lS1_PS2_PKS1_21rocsparse_index_base_,@function
_ZN9rocsparseL23sddmm_ell_sample_kernelILi16ELi32EDF16_lDF16_EEvT2_S1_PKT3_lS1_PS2_PKS1_21rocsparse_index_base_: ; @_ZN9rocsparseL23sddmm_ell_sample_kernelILi16ELi32EDF16_lDF16_EEvT2_S1_PKT3_lS1_PS2_PKS1_21rocsparse_index_base_
; %bb.0:
	s_load_dwordx4 s[0:3], s[4:5], 0x18
	v_lshrrev_b32_e32 v1, 5, v0
	v_lshl_or_b32 v2, s6, 4, v1
	v_mov_b32_e32 v1, 0
	v_mov_b32_e32 v3, v1
	s_waitcnt lgkmcnt(0)
	v_cmp_gt_i64_e32 vcc, s[2:3], v[2:3]
	s_and_saveexec_b64 s[2:3], vcc
	s_cbranch_execz .LBB30_6
; %bb.1:
	s_load_dwordx4 s[8:11], s[4:5], 0x0
	v_and_b32_e32 v0, 31, v0
	s_waitcnt lgkmcnt(0)
	v_cmp_gt_i64_e32 vcc, s[8:9], v[0:1]
	s_and_b64 exec, exec, vcc
	s_cbranch_execz .LBB30_6
; %bb.2:
	v_mad_u64_u32 v[4:5], s[2:3], v2, s8, v[0:1]
	s_load_dwordx2 s[16:17], s[4:5], 0x10
	s_load_dwordx4 s[12:15], s[4:5], 0x28
	s_load_dword s6, s[4:5], 0x38
	v_mov_b32_e32 v6, v5
	v_mad_u64_u32 v[2:3], s[2:3], v2, s9, v[6:7]
	v_mov_b32_e32 v5, v2
	v_lshlrev_b64 v[2:3], 3, v[4:5]
	s_waitcnt lgkmcnt(0)
	v_mov_b32_e32 v6, s15
	v_add_co_u32_e32 v2, vcc, s14, v2
	v_addc_co_u32_e32 v3, vcc, v6, v3, vcc
	v_lshlrev_b64 v[4:5], 1, v[4:5]
	v_mov_b32_e32 v6, s13
	v_add_co_u32_e32 v4, vcc, s12, v4
	v_addc_co_u32_e32 v5, vcc, v6, v5, vcc
	v_lshlrev_b32_e32 v6, 1, v0
	s_mov_b32 s7, 0
	v_mov_b32_e32 v7, s17
	v_add_co_u32_e32 v6, vcc, s16, v6
	s_lshl_b64 s[2:3], s[0:1], 1
	v_addc_co_u32_e32 v7, vcc, 0, v7, vcc
	s_mov_b64 s[4:5], 0
	v_mov_b32_e32 v10, s7
	s_branch .LBB30_4
.LBB30_3:                               ;   in Loop: Header=BB30_4 Depth=1
	s_or_b64 exec, exec, s[0:1]
	v_add_co_u32_e32 v0, vcc, 32, v0
	v_addc_co_u32_e32 v1, vcc, 0, v1, vcc
	v_add_co_u32_e32 v2, vcc, 0x100, v2
	v_addc_co_u32_e32 v3, vcc, 0, v3, vcc
	v_add_co_u32_e32 v4, vcc, 64, v4
	v_addc_co_u32_e32 v5, vcc, 0, v5, vcc
	v_cmp_le_i64_e32 vcc, s[8:9], v[0:1]
	s_or_b64 s[4:5], vcc, s[4:5]
	v_add_co_u32_e32 v6, vcc, 64, v6
	v_addc_co_u32_e32 v7, vcc, 0, v7, vcc
	s_andn2_b64 exec, exec, s[4:5]
	s_cbranch_execz .LBB30_6
.LBB30_4:                               ; =>This Inner Loop Header: Depth=1
	global_load_dwordx2 v[8:9], v[2:3], off
	s_waitcnt vmcnt(0)
	v_subrev_co_u32_e32 v8, vcc, s6, v8
	v_subb_co_u32_e32 v9, vcc, v9, v10, vcc
	v_cmp_lt_i64_e32 vcc, -1, v[8:9]
	v_cmp_gt_i64_e64 s[0:1], s[10:11], v[8:9]
	s_and_b64 s[12:13], vcc, s[0:1]
	s_and_saveexec_b64 s[0:1], s[12:13]
	s_cbranch_execz .LBB30_3
; %bb.5:                                ;   in Loop: Header=BB30_4 Depth=1
	v_mad_u64_u32 v[12:13], s[12:13], s2, v8, v[6:7]
	v_mul_lo_u32 v9, s2, v9
	v_mul_lo_u32 v8, s3, v8
	v_add3_u32 v13, v8, v13, v9
	global_load_ushort v8, v[12:13], off
	s_waitcnt vmcnt(0)
	global_store_short v[4:5], v8, off
	s_branch .LBB30_3
.LBB30_6:
	s_endpgm
	.section	.rodata,"a",@progbits
	.p2align	6, 0x0
	.amdhsa_kernel _ZN9rocsparseL23sddmm_ell_sample_kernelILi16ELi32EDF16_lDF16_EEvT2_S1_PKT3_lS1_PS2_PKS1_21rocsparse_index_base_
		.amdhsa_group_segment_fixed_size 0
		.amdhsa_private_segment_fixed_size 0
		.amdhsa_kernarg_size 60
		.amdhsa_user_sgpr_count 6
		.amdhsa_user_sgpr_private_segment_buffer 1
		.amdhsa_user_sgpr_dispatch_ptr 0
		.amdhsa_user_sgpr_queue_ptr 0
		.amdhsa_user_sgpr_kernarg_segment_ptr 1
		.amdhsa_user_sgpr_dispatch_id 0
		.amdhsa_user_sgpr_flat_scratch_init 0
		.amdhsa_user_sgpr_kernarg_preload_length 0
		.amdhsa_user_sgpr_kernarg_preload_offset 0
		.amdhsa_user_sgpr_private_segment_size 0
		.amdhsa_uses_dynamic_stack 0
		.amdhsa_system_sgpr_private_segment_wavefront_offset 0
		.amdhsa_system_sgpr_workgroup_id_x 1
		.amdhsa_system_sgpr_workgroup_id_y 0
		.amdhsa_system_sgpr_workgroup_id_z 0
		.amdhsa_system_sgpr_workgroup_info 0
		.amdhsa_system_vgpr_workitem_id 0
		.amdhsa_next_free_vgpr 14
		.amdhsa_next_free_sgpr 18
		.amdhsa_accum_offset 16
		.amdhsa_reserve_vcc 1
		.amdhsa_reserve_flat_scratch 0
		.amdhsa_float_round_mode_32 0
		.amdhsa_float_round_mode_16_64 0
		.amdhsa_float_denorm_mode_32 3
		.amdhsa_float_denorm_mode_16_64 3
		.amdhsa_dx10_clamp 1
		.amdhsa_ieee_mode 1
		.amdhsa_fp16_overflow 0
		.amdhsa_tg_split 0
		.amdhsa_exception_fp_ieee_invalid_op 0
		.amdhsa_exception_fp_denorm_src 0
		.amdhsa_exception_fp_ieee_div_zero 0
		.amdhsa_exception_fp_ieee_overflow 0
		.amdhsa_exception_fp_ieee_underflow 0
		.amdhsa_exception_fp_ieee_inexact 0
		.amdhsa_exception_int_div_zero 0
	.end_amdhsa_kernel
	.section	.text._ZN9rocsparseL23sddmm_ell_sample_kernelILi16ELi32EDF16_lDF16_EEvT2_S1_PKT3_lS1_PS2_PKS1_21rocsparse_index_base_,"axG",@progbits,_ZN9rocsparseL23sddmm_ell_sample_kernelILi16ELi32EDF16_lDF16_EEvT2_S1_PKT3_lS1_PS2_PKS1_21rocsparse_index_base_,comdat
.Lfunc_end30:
	.size	_ZN9rocsparseL23sddmm_ell_sample_kernelILi16ELi32EDF16_lDF16_EEvT2_S1_PKT3_lS1_PS2_PKS1_21rocsparse_index_base_, .Lfunc_end30-_ZN9rocsparseL23sddmm_ell_sample_kernelILi16ELi32EDF16_lDF16_EEvT2_S1_PKT3_lS1_PS2_PKS1_21rocsparse_index_base_
                                        ; -- End function
	.section	.AMDGPU.csdata,"",@progbits
; Kernel info:
; codeLenInByte = 360
; NumSgprs: 22
; NumVgprs: 14
; NumAgprs: 0
; TotalNumVgprs: 14
; ScratchSize: 0
; MemoryBound: 0
; FloatMode: 240
; IeeeMode: 1
; LDSByteSize: 0 bytes/workgroup (compile time only)
; SGPRBlocks: 2
; VGPRBlocks: 1
; NumSGPRsForWavesPerEU: 22
; NumVGPRsForWavesPerEU: 14
; AccumOffset: 16
; Occupancy: 8
; WaveLimiterHint : 1
; COMPUTE_PGM_RSRC2:SCRATCH_EN: 0
; COMPUTE_PGM_RSRC2:USER_SGPR: 6
; COMPUTE_PGM_RSRC2:TRAP_HANDLER: 0
; COMPUTE_PGM_RSRC2:TGID_X_EN: 1
; COMPUTE_PGM_RSRC2:TGID_Y_EN: 0
; COMPUTE_PGM_RSRC2:TGID_Z_EN: 0
; COMPUTE_PGM_RSRC2:TIDIG_COMP_CNT: 0
; COMPUTE_PGM_RSRC3_GFX90A:ACCUM_OFFSET: 3
; COMPUTE_PGM_RSRC3_GFX90A:TG_SPLIT: 0
	.section	.text._ZN9rocsparseL23sddmm_ell_sample_kernelILi16ELi64EDF16_lDF16_EEvT2_S1_PKT3_lS1_PS2_PKS1_21rocsparse_index_base_,"axG",@progbits,_ZN9rocsparseL23sddmm_ell_sample_kernelILi16ELi64EDF16_lDF16_EEvT2_S1_PKT3_lS1_PS2_PKS1_21rocsparse_index_base_,comdat
	.globl	_ZN9rocsparseL23sddmm_ell_sample_kernelILi16ELi64EDF16_lDF16_EEvT2_S1_PKT3_lS1_PS2_PKS1_21rocsparse_index_base_ ; -- Begin function _ZN9rocsparseL23sddmm_ell_sample_kernelILi16ELi64EDF16_lDF16_EEvT2_S1_PKT3_lS1_PS2_PKS1_21rocsparse_index_base_
	.p2align	8
	.type	_ZN9rocsparseL23sddmm_ell_sample_kernelILi16ELi64EDF16_lDF16_EEvT2_S1_PKT3_lS1_PS2_PKS1_21rocsparse_index_base_,@function
_ZN9rocsparseL23sddmm_ell_sample_kernelILi16ELi64EDF16_lDF16_EEvT2_S1_PKT3_lS1_PS2_PKS1_21rocsparse_index_base_: ; @_ZN9rocsparseL23sddmm_ell_sample_kernelILi16ELi64EDF16_lDF16_EEvT2_S1_PKT3_lS1_PS2_PKS1_21rocsparse_index_base_
; %bb.0:
	s_load_dwordx4 s[0:3], s[4:5], 0x18
	v_lshrrev_b32_e32 v1, 6, v0
	v_lshl_or_b32 v2, s6, 4, v1
	v_mov_b32_e32 v1, 0
	v_mov_b32_e32 v3, v1
	s_waitcnt lgkmcnt(0)
	v_cmp_gt_i64_e32 vcc, s[2:3], v[2:3]
	s_and_saveexec_b64 s[2:3], vcc
	s_cbranch_execz .LBB31_6
; %bb.1:
	s_load_dwordx4 s[8:11], s[4:5], 0x0
	v_and_b32_e32 v0, 63, v0
	s_waitcnt lgkmcnt(0)
	v_cmp_gt_i64_e32 vcc, s[8:9], v[0:1]
	s_and_b64 exec, exec, vcc
	s_cbranch_execz .LBB31_6
; %bb.2:
	v_mad_u64_u32 v[4:5], s[2:3], v2, s8, v[0:1]
	s_load_dwordx2 s[16:17], s[4:5], 0x10
	s_load_dwordx4 s[12:15], s[4:5], 0x28
	s_load_dword s6, s[4:5], 0x38
	v_mov_b32_e32 v6, v5
	v_mad_u64_u32 v[2:3], s[2:3], v2, s9, v[6:7]
	v_mov_b32_e32 v5, v2
	v_lshlrev_b64 v[2:3], 3, v[4:5]
	s_waitcnt lgkmcnt(0)
	v_mov_b32_e32 v6, s15
	v_add_co_u32_e32 v2, vcc, s14, v2
	v_addc_co_u32_e32 v3, vcc, v6, v3, vcc
	v_lshlrev_b64 v[4:5], 1, v[4:5]
	v_mov_b32_e32 v6, s13
	v_add_co_u32_e32 v4, vcc, s12, v4
	v_addc_co_u32_e32 v5, vcc, v6, v5, vcc
	v_lshlrev_b32_e32 v6, 1, v0
	s_mov_b32 s7, 0
	v_mov_b32_e32 v7, s17
	v_add_co_u32_e32 v6, vcc, s16, v6
	s_lshl_b64 s[2:3], s[0:1], 1
	v_addc_co_u32_e32 v7, vcc, 0, v7, vcc
	s_mov_b64 s[4:5], 0
	v_mov_b32_e32 v10, s7
	s_branch .LBB31_4
.LBB31_3:                               ;   in Loop: Header=BB31_4 Depth=1
	s_or_b64 exec, exec, s[0:1]
	v_add_co_u32_e32 v0, vcc, 64, v0
	v_addc_co_u32_e32 v1, vcc, 0, v1, vcc
	v_add_co_u32_e32 v2, vcc, 0x200, v2
	v_addc_co_u32_e32 v3, vcc, 0, v3, vcc
	;; [unrolled: 2-line block ×3, first 2 shown]
	v_add_co_u32_e32 v6, vcc, 0x80, v6
	v_cmp_le_i64_e64 s[0:1], s[8:9], v[0:1]
	s_or_b64 s[4:5], s[0:1], s[4:5]
	v_addc_co_u32_e32 v7, vcc, 0, v7, vcc
	s_andn2_b64 exec, exec, s[4:5]
	s_cbranch_execz .LBB31_6
.LBB31_4:                               ; =>This Inner Loop Header: Depth=1
	global_load_dwordx2 v[8:9], v[2:3], off
	s_waitcnt vmcnt(0)
	v_subrev_co_u32_e32 v8, vcc, s6, v8
	v_subb_co_u32_e32 v9, vcc, v9, v10, vcc
	v_cmp_lt_i64_e32 vcc, -1, v[8:9]
	v_cmp_gt_i64_e64 s[0:1], s[10:11], v[8:9]
	s_and_b64 s[12:13], vcc, s[0:1]
	s_and_saveexec_b64 s[0:1], s[12:13]
	s_cbranch_execz .LBB31_3
; %bb.5:                                ;   in Loop: Header=BB31_4 Depth=1
	v_mad_u64_u32 v[12:13], s[12:13], s2, v8, v[6:7]
	v_mul_lo_u32 v9, s2, v9
	v_mul_lo_u32 v8, s3, v8
	v_add3_u32 v13, v8, v13, v9
	global_load_ushort v8, v[12:13], off
	s_waitcnt vmcnt(0)
	global_store_short v[4:5], v8, off
	s_branch .LBB31_3
.LBB31_6:
	s_endpgm
	.section	.rodata,"a",@progbits
	.p2align	6, 0x0
	.amdhsa_kernel _ZN9rocsparseL23sddmm_ell_sample_kernelILi16ELi64EDF16_lDF16_EEvT2_S1_PKT3_lS1_PS2_PKS1_21rocsparse_index_base_
		.amdhsa_group_segment_fixed_size 0
		.amdhsa_private_segment_fixed_size 0
		.amdhsa_kernarg_size 60
		.amdhsa_user_sgpr_count 6
		.amdhsa_user_sgpr_private_segment_buffer 1
		.amdhsa_user_sgpr_dispatch_ptr 0
		.amdhsa_user_sgpr_queue_ptr 0
		.amdhsa_user_sgpr_kernarg_segment_ptr 1
		.amdhsa_user_sgpr_dispatch_id 0
		.amdhsa_user_sgpr_flat_scratch_init 0
		.amdhsa_user_sgpr_kernarg_preload_length 0
		.amdhsa_user_sgpr_kernarg_preload_offset 0
		.amdhsa_user_sgpr_private_segment_size 0
		.amdhsa_uses_dynamic_stack 0
		.amdhsa_system_sgpr_private_segment_wavefront_offset 0
		.amdhsa_system_sgpr_workgroup_id_x 1
		.amdhsa_system_sgpr_workgroup_id_y 0
		.amdhsa_system_sgpr_workgroup_id_z 0
		.amdhsa_system_sgpr_workgroup_info 0
		.amdhsa_system_vgpr_workitem_id 0
		.amdhsa_next_free_vgpr 14
		.amdhsa_next_free_sgpr 18
		.amdhsa_accum_offset 16
		.amdhsa_reserve_vcc 1
		.amdhsa_reserve_flat_scratch 0
		.amdhsa_float_round_mode_32 0
		.amdhsa_float_round_mode_16_64 0
		.amdhsa_float_denorm_mode_32 3
		.amdhsa_float_denorm_mode_16_64 3
		.amdhsa_dx10_clamp 1
		.amdhsa_ieee_mode 1
		.amdhsa_fp16_overflow 0
		.amdhsa_tg_split 0
		.amdhsa_exception_fp_ieee_invalid_op 0
		.amdhsa_exception_fp_denorm_src 0
		.amdhsa_exception_fp_ieee_div_zero 0
		.amdhsa_exception_fp_ieee_overflow 0
		.amdhsa_exception_fp_ieee_underflow 0
		.amdhsa_exception_fp_ieee_inexact 0
		.amdhsa_exception_int_div_zero 0
	.end_amdhsa_kernel
	.section	.text._ZN9rocsparseL23sddmm_ell_sample_kernelILi16ELi64EDF16_lDF16_EEvT2_S1_PKT3_lS1_PS2_PKS1_21rocsparse_index_base_,"axG",@progbits,_ZN9rocsparseL23sddmm_ell_sample_kernelILi16ELi64EDF16_lDF16_EEvT2_S1_PKT3_lS1_PS2_PKS1_21rocsparse_index_base_,comdat
.Lfunc_end31:
	.size	_ZN9rocsparseL23sddmm_ell_sample_kernelILi16ELi64EDF16_lDF16_EEvT2_S1_PKT3_lS1_PS2_PKS1_21rocsparse_index_base_, .Lfunc_end31-_ZN9rocsparseL23sddmm_ell_sample_kernelILi16ELi64EDF16_lDF16_EEvT2_S1_PKT3_lS1_PS2_PKS1_21rocsparse_index_base_
                                        ; -- End function
	.section	.AMDGPU.csdata,"",@progbits
; Kernel info:
; codeLenInByte = 372
; NumSgprs: 22
; NumVgprs: 14
; NumAgprs: 0
; TotalNumVgprs: 14
; ScratchSize: 0
; MemoryBound: 0
; FloatMode: 240
; IeeeMode: 1
; LDSByteSize: 0 bytes/workgroup (compile time only)
; SGPRBlocks: 2
; VGPRBlocks: 1
; NumSGPRsForWavesPerEU: 22
; NumVGPRsForWavesPerEU: 14
; AccumOffset: 16
; Occupancy: 8
; WaveLimiterHint : 1
; COMPUTE_PGM_RSRC2:SCRATCH_EN: 0
; COMPUTE_PGM_RSRC2:USER_SGPR: 6
; COMPUTE_PGM_RSRC2:TRAP_HANDLER: 0
; COMPUTE_PGM_RSRC2:TGID_X_EN: 1
; COMPUTE_PGM_RSRC2:TGID_Y_EN: 0
; COMPUTE_PGM_RSRC2:TGID_Z_EN: 0
; COMPUTE_PGM_RSRC2:TIDIG_COMP_CNT: 0
; COMPUTE_PGM_RSRC3_GFX90A:ACCUM_OFFSET: 3
; COMPUTE_PGM_RSRC3_GFX90A:TG_SPLIT: 0
	.section	.text._ZN9rocsparseL16sddmm_ell_kernelILi512ELi8EDF16_llDF16_DF16_DF16_EEv20rocsparse_operation_S1_16rocsparse_order_S2_T3_S3_S3_T2_NS_24const_host_device_scalarIT1_EEPKT4_lPKT5_lS7_PT6_PKS3_21rocsparse_index_base_b,"axG",@progbits,_ZN9rocsparseL16sddmm_ell_kernelILi512ELi8EDF16_llDF16_DF16_DF16_EEv20rocsparse_operation_S1_16rocsparse_order_S2_T3_S3_S3_T2_NS_24const_host_device_scalarIT1_EEPKT4_lPKT5_lS7_PT6_PKS3_21rocsparse_index_base_b,comdat
	.globl	_ZN9rocsparseL16sddmm_ell_kernelILi512ELi8EDF16_llDF16_DF16_DF16_EEv20rocsparse_operation_S1_16rocsparse_order_S2_T3_S3_S3_T2_NS_24const_host_device_scalarIT1_EEPKT4_lPKT5_lS7_PT6_PKS3_21rocsparse_index_base_b ; -- Begin function _ZN9rocsparseL16sddmm_ell_kernelILi512ELi8EDF16_llDF16_DF16_DF16_EEv20rocsparse_operation_S1_16rocsparse_order_S2_T3_S3_S3_T2_NS_24const_host_device_scalarIT1_EEPKT4_lPKT5_lS7_PT6_PKS3_21rocsparse_index_base_b
	.p2align	8
	.type	_ZN9rocsparseL16sddmm_ell_kernelILi512ELi8EDF16_llDF16_DF16_DF16_EEv20rocsparse_operation_S1_16rocsparse_order_S2_T3_S3_S3_T2_NS_24const_host_device_scalarIT1_EEPKT4_lPKT5_lS7_PT6_PKS3_21rocsparse_index_base_b,@function
_ZN9rocsparseL16sddmm_ell_kernelILi512ELi8EDF16_llDF16_DF16_DF16_EEv20rocsparse_operation_S1_16rocsparse_order_S2_T3_S3_S3_T2_NS_24const_host_device_scalarIT1_EEPKT4_lPKT5_lS7_PT6_PKS3_21rocsparse_index_base_b: ; @_ZN9rocsparseL16sddmm_ell_kernelILi512ELi8EDF16_llDF16_DF16_DF16_EEv20rocsparse_operation_S1_16rocsparse_order_S2_T3_S3_S3_T2_NS_24const_host_device_scalarIT1_EEPKT4_lPKT5_lS7_PT6_PKS3_21rocsparse_index_base_b
; %bb.0:
	s_load_dwordx2 s[16:17], s[4:5], 0x70
	s_load_dwordx2 s[2:3], s[4:5], 0x30
	s_load_dwordx4 s[12:15], s[4:5], 0x50
	s_waitcnt lgkmcnt(0)
	s_bitcmp1_b32 s17, 0
	s_cselect_b64 s[8:9], -1, 0
	s_xor_b64 s[0:1], s[8:9], -1
	s_and_b64 vcc, exec, s[8:9]
	v_mov_b32_e32 v10, s2
	s_cbranch_vccnz .LBB32_2
; %bb.1:
	v_mov_b32_e32 v1, 0
	global_load_ushort v10, v1, s[2:3]
.LBB32_2:
	s_andn2_b64 vcc, exec, s[0:1]
	v_mov_b32_e32 v11, s14
	s_cbranch_vccnz .LBB32_4
; %bb.3:
	v_mov_b32_e32 v1, 0
	global_load_ushort v11, v1, s[14:15]
.LBB32_4:
	s_waitcnt vmcnt(0)
	v_cmp_eq_f16_e32 vcc, 0, v10
	v_cmp_eq_f16_e64 s[0:1], 1.0, v11
	s_and_b64 s[0:1], vcc, s[0:1]
	s_and_b64 vcc, exec, s[0:1]
	s_cbranch_vccnz .LBB32_39
; %bb.5:
	s_load_dwordx4 s[8:11], s[4:5], 0x20
	v_lshrrev_b32_e32 v12, 3, v0
	v_lshl_or_b32 v2, s6, 6, v12
	v_mov_b32_e32 v3, 0
	s_waitcnt lgkmcnt(0)
	v_cmp_gt_i64_e32 vcc, s[10:11], v[2:3]
	s_and_saveexec_b64 s[0:1], vcc
	s_cbranch_execz .LBB32_39
; %bb.6:
	s_load_dwordx2 s[10:11], s[4:5], 0x10
	s_load_dwordx2 s[6:7], s[4:5], 0x68
	s_mov_b32 s0, 0
                                        ; implicit-def: $vgpr8_vgpr9
	s_waitcnt lgkmcnt(0)
	s_mov_b32 s1, s11
	s_cmp_lg_u64 s[0:1], 0
	s_cselect_b64 s[0:1], -1, 0
	s_and_saveexec_b64 s[2:3], s[0:1]
	s_xor_b64 s[14:15], exec, s[2:3]
	s_cbranch_execz .LBB32_8
; %bb.7:
	s_ashr_i32 s0, s11, 31
	s_add_u32 s2, s10, s0
	s_mov_b32 s1, s0
	s_addc_u32 s3, s11, s0
	s_xor_b64 s[18:19], s[2:3], s[0:1]
	v_cvt_f32_u32_e32 v1, s18
	v_cvt_f32_u32_e32 v4, s19
	s_sub_u32 s0, 0, s18
	s_subb_u32 s1, 0, s19
	v_madmk_f32 v1, v4, 0x4f800000, v1
	v_rcp_f32_e32 v1, v1
	v_mul_f32_e32 v1, 0x5f7ffffc, v1
	v_mul_f32_e32 v4, 0x2f800000, v1
	v_trunc_f32_e32 v4, v4
	v_madmk_f32 v1, v4, 0xcf800000, v1
	v_cvt_u32_f32_e32 v4, v4
	v_cvt_u32_f32_e32 v1, v1
	v_mul_lo_u32 v5, s0, v4
	v_mul_hi_u32 v7, s0, v1
	v_mul_lo_u32 v6, s1, v1
	v_add_u32_e32 v5, v7, v5
	v_mul_lo_u32 v8, s0, v1
	v_add_u32_e32 v5, v5, v6
	v_mul_lo_u32 v7, v1, v5
	v_mul_hi_u32 v9, v1, v8
	v_mul_hi_u32 v6, v1, v5
	v_add_co_u32_e32 v7, vcc, v9, v7
	v_addc_co_u32_e32 v6, vcc, 0, v6, vcc
	v_mul_hi_u32 v13, v4, v8
	v_mul_lo_u32 v8, v4, v8
	v_add_co_u32_e32 v7, vcc, v7, v8
	v_mul_hi_u32 v9, v4, v5
	v_addc_co_u32_e32 v6, vcc, v6, v13, vcc
	v_addc_co_u32_e32 v7, vcc, 0, v9, vcc
	v_mul_lo_u32 v5, v4, v5
	v_add_co_u32_e32 v5, vcc, v6, v5
	v_addc_co_u32_e32 v6, vcc, 0, v7, vcc
	v_add_co_u32_e32 v1, vcc, v1, v5
	v_addc_co_u32_e32 v4, vcc, v4, v6, vcc
	v_mul_lo_u32 v5, s0, v4
	v_mul_hi_u32 v6, s0, v1
	v_add_u32_e32 v5, v6, v5
	v_mul_lo_u32 v6, s1, v1
	v_add_u32_e32 v5, v5, v6
	v_mul_lo_u32 v7, s0, v1
	v_mul_hi_u32 v8, v4, v7
	v_mul_lo_u32 v9, v4, v7
	v_mul_lo_u32 v14, v1, v5
	v_mul_hi_u32 v7, v1, v7
	v_mul_hi_u32 v13, v1, v5
	v_add_co_u32_e32 v7, vcc, v7, v14
	v_addc_co_u32_e32 v13, vcc, 0, v13, vcc
	v_add_co_u32_e32 v7, vcc, v7, v9
	v_mul_hi_u32 v6, v4, v5
	v_addc_co_u32_e32 v7, vcc, v13, v8, vcc
	v_addc_co_u32_e32 v6, vcc, 0, v6, vcc
	v_mul_lo_u32 v5, v4, v5
	v_add_co_u32_e32 v5, vcc, v7, v5
	v_addc_co_u32_e32 v6, vcc, 0, v6, vcc
	v_add_co_u32_e32 v1, vcc, v1, v5
	v_addc_co_u32_e32 v6, vcc, v4, v6, vcc
	v_mad_u64_u32 v[4:5], s[0:1], v2, v6, 0
	v_mul_hi_u32 v7, v2, v1
	v_add_co_u32_e32 v8, vcc, v7, v4
	v_addc_co_u32_e32 v9, vcc, 0, v5, vcc
	v_mad_u64_u32 v[4:5], s[0:1], 0, v6, 0
	v_mad_u64_u32 v[6:7], s[0:1], 0, v1, 0
	v_add_co_u32_e32 v1, vcc, v8, v6
	v_addc_co_u32_e32 v1, vcc, v9, v7, vcc
	v_addc_co_u32_e32 v5, vcc, 0, v5, vcc
	v_add_co_u32_e32 v1, vcc, v1, v4
	v_addc_co_u32_e32 v4, vcc, 0, v5, vcc
	v_mul_lo_u32 v6, s19, v1
	v_mul_lo_u32 v7, s18, v4
	v_mad_u64_u32 v[4:5], s[0:1], s18, v1, 0
	v_add3_u32 v1, v5, v7, v6
	v_sub_u32_e32 v5, 0, v1
	v_mov_b32_e32 v6, s19
	v_sub_co_u32_e32 v4, vcc, v2, v4
	v_subb_co_u32_e64 v5, s[0:1], v5, v6, vcc
	v_subrev_co_u32_e64 v7, s[0:1], s18, v4
	v_subbrev_co_u32_e64 v8, s[2:3], 0, v5, s[0:1]
	v_cmp_le_u32_e64 s[2:3], s19, v8
	v_cndmask_b32_e64 v9, 0, -1, s[2:3]
	v_cmp_le_u32_e64 s[2:3], s18, v7
	v_subb_co_u32_e64 v5, s[0:1], v5, v6, s[0:1]
	v_cndmask_b32_e64 v13, 0, -1, s[2:3]
	v_cmp_eq_u32_e64 s[2:3], s19, v8
	v_subrev_co_u32_e64 v6, s[0:1], s18, v7
	v_cndmask_b32_e64 v9, v9, v13, s[2:3]
	v_subbrev_co_u32_e64 v5, s[0:1], 0, v5, s[0:1]
	v_subb_co_u32_e32 v1, vcc, 0, v1, vcc
	v_cmp_ne_u32_e64 s[0:1], 0, v9
	v_cmp_le_u32_e32 vcc, s19, v1
	v_cndmask_b32_e64 v5, v8, v5, s[0:1]
	v_cndmask_b32_e64 v8, 0, -1, vcc
	v_cmp_le_u32_e32 vcc, s18, v4
	v_cndmask_b32_e64 v9, 0, -1, vcc
	v_cmp_eq_u32_e32 vcc, s19, v1
	v_cndmask_b32_e32 v8, v8, v9, vcc
	v_cmp_ne_u32_e32 vcc, 0, v8
	v_cndmask_b32_e32 v1, v1, v5, vcc
	v_cndmask_b32_e64 v5, v7, v6, s[0:1]
	v_cndmask_b32_e32 v4, v4, v5, vcc
	v_subrev_co_u32_e32 v8, vcc, 0, v4
	v_subbrev_co_u32_e32 v9, vcc, 0, v1, vcc
.LBB32_8:
	s_andn2_saveexec_b64 s[0:1], s[14:15]
	s_cbranch_execz .LBB32_10
; %bb.9:
	v_cvt_f32_u32_e32 v1, s10
	s_sub_i32 s2, 0, s10
	v_mov_b32_e32 v9, 0
	v_rcp_iflag_f32_e32 v1, v1
	v_mul_f32_e32 v1, 0x4f7ffffe, v1
	v_cvt_u32_f32_e32 v1, v1
	v_mul_lo_u32 v4, s2, v1
	v_mul_hi_u32 v4, v1, v4
	v_add_u32_e32 v1, v1, v4
	v_mul_hi_u32 v1, v2, v1
	v_mul_lo_u32 v1, v1, s10
	v_sub_u32_e32 v1, v2, v1
	v_subrev_u32_e32 v4, s10, v1
	v_cmp_le_u32_e32 vcc, s10, v1
	v_cndmask_b32_e32 v1, v1, v4, vcc
	v_subrev_u32_e32 v4, s10, v1
	v_cmp_le_u32_e32 vcc, s10, v1
	v_cndmask_b32_e32 v8, v1, v4, vcc
.LBB32_10:
	s_or_b64 exec, exec, s[0:1]
	v_lshlrev_b64 v[4:5], 3, v[2:3]
	v_mov_b32_e32 v1, s7
	v_add_co_u32_e32 v4, vcc, s6, v4
	v_addc_co_u32_e32 v5, vcc, v1, v5, vcc
	global_load_dwordx2 v[4:5], v[4:5], off
	s_mov_b64 s[18:19], -1
	s_waitcnt vmcnt(0)
	v_subrev_co_u32_e32 v6, vcc, s16, v4
	v_subbrev_co_u32_e32 v7, vcc, 0, v5, vcc
	v_cmp_lt_i64_e32 vcc, -1, v[6:7]
	s_and_b64 exec, exec, vcc
	s_cbranch_execz .LBB32_39
; %bb.11:
	s_load_dwordx4 s[0:3], s[4:5], 0x0
	s_load_dwordx2 s[6:7], s[4:5], 0x40
	s_waitcnt lgkmcnt(0)
	s_cmp_eq_u32 s2, 1
	s_cselect_b64 s[10:11], -1, 0
	s_cmpk_eq_i32 s0, 0x6f
	s_cselect_b64 s[14:15], -1, 0
	s_cmpk_lg_i32 s0, 0x6f
	s_cselect_b64 s[16:17], -1, 0
	s_cmp_lg_u32 s2, 1
	s_cbranch_scc0 .LBB32_15
; %bb.12:
	s_andn2_b64 vcc, exec, s[14:15]
	v_pk_mov_b32 v[4:5], v[8:9], v[8:9] op_sel:[0,1]
	s_cbranch_vccnz .LBB32_14
; %bb.13:
	v_mul_lo_u32 v1, v9, s6
	v_mul_lo_u32 v13, v8, s7
	v_mad_u64_u32 v[4:5], s[18:19], v8, s6, 0
	v_add3_u32 v5, v5, v13, v1
.LBB32_14:
	s_cbranch_execz .LBB32_16
	s_branch .LBB32_19
.LBB32_15:
                                        ; implicit-def: $vgpr4_vgpr5
	s_andn2_b64 vcc, exec, s[18:19]
	s_cbranch_vccnz .LBB32_19
.LBB32_16:
	s_andn2_b64 vcc, exec, s[16:17]
	s_cbranch_vccnz .LBB32_18
; %bb.17:
	v_mul_lo_u32 v1, v9, s6
	v_mul_lo_u32 v4, v8, s7
	v_mad_u64_u32 v[8:9], s[16:17], v8, s6, 0
	v_add3_u32 v9, v9, v4, v1
.LBB32_18:
	v_pk_mov_b32 v[4:5], v[8:9], v[8:9] op_sel:[0,1]
.LBB32_19:
	s_cmp_eq_u32 s3, 1
	s_cselect_b64 s[16:17], -1, 0
	s_cmpk_eq_i32 s1, 0x6f
	s_cselect_b64 s[18:19], -1, 0
	s_cmpk_lg_i32 s1, 0x6f
	s_cselect_b64 s[0:1], -1, 0
	s_cmp_lg_u32 s3, 1
	s_cbranch_scc0 .LBB32_23
; %bb.20:
	s_andn2_b64 vcc, exec, s[0:1]
	v_pk_mov_b32 v[8:9], v[6:7], v[6:7] op_sel:[0,1]
	s_cbranch_vccnz .LBB32_22
; %bb.21:
	v_mul_lo_u32 v1, v7, s12
	v_mul_lo_u32 v13, v6, s13
	v_mad_u64_u32 v[8:9], s[0:1], v6, s12, 0
	v_add3_u32 v9, v9, v13, v1
.LBB32_22:
	s_cbranch_execz .LBB32_24
	s_branch .LBB32_27
.LBB32_23:
                                        ; implicit-def: $vgpr8_vgpr9
.LBB32_24:
	s_andn2_b64 vcc, exec, s[18:19]
	s_cbranch_vccnz .LBB32_26
; %bb.25:
	v_mul_lo_u32 v1, v7, s12
	v_mul_lo_u32 v8, v6, s13
	v_mad_u64_u32 v[6:7], s[0:1], v6, s12, 0
	v_add3_u32 v7, v7, v8, v1
.LBB32_26:
	v_pk_mov_b32 v[8:9], v[6:7], v[6:7] op_sel:[0,1]
.LBB32_27:
	s_load_dwordx2 s[0:1], s[4:5], 0x60
	v_and_b32_e32 v0, 7, v0
	v_mov_b32_e32 v1, 0
	v_cmp_gt_i64_e32 vcc, s[8:9], v[0:1]
	s_and_saveexec_b64 s[2:3], vcc
	s_cbranch_execz .LBB32_31
; %bb.28:
	s_load_dwordx2 s[20:21], s[4:5], 0x38
	s_load_dwordx2 s[22:23], s[4:5], 0x48
	s_xor_b64 s[4:5], s[14:15], s[10:11]
	s_and_b64 s[4:5], s[4:5], exec
	s_cselect_b32 s7, 0, s7
	s_cselect_b32 s6, 1, s6
	s_xor_b64 s[4:5], s[18:19], s[16:17]
	s_and_b64 s[4:5], s[4:5], exec
	s_cselect_b32 s4, s12, 1
	v_mad_u64_u32 v[6:7], s[10:11], s4, v0, 0
	s_cselect_b32 s5, s13, 0
	v_mov_b32_e32 v14, v7
	v_mad_u64_u32 v[14:15], s[10:11], s5, v0, v[14:15]
	v_mov_b32_e32 v7, v14
	v_lshlrev_b64 v[6:7], 1, v[6:7]
	v_lshlrev_b64 v[8:9], 1, v[8:9]
	v_add_co_u32_e32 v6, vcc, v6, v8
	v_addc_co_u32_e32 v7, vcc, v7, v9, vcc
	s_waitcnt lgkmcnt(0)
	v_mov_b32_e32 v8, s23
	v_add_co_u32_e32 v6, vcc, s22, v6
	v_addc_co_u32_e32 v7, vcc, v8, v7, vcc
	v_mad_u64_u32 v[8:9], s[10:11], s6, v0, 0
	v_mov_b32_e32 v14, v9
	v_mad_u64_u32 v[14:15], s[10:11], s7, v0, v[14:15]
	v_mov_b32_e32 v9, v14
	v_lshlrev_b64 v[8:9], 1, v[8:9]
	v_lshlrev_b64 v[4:5], 1, v[4:5]
	v_add_co_u32_e32 v4, vcc, v8, v4
	v_addc_co_u32_e32 v5, vcc, v9, v5, vcc
	s_lshl_b64 s[4:5], s[4:5], 4
	v_mov_b32_e32 v8, s21
	v_add_co_u32_e32 v4, vcc, s20, v4
	s_lshl_b64 s[10:11], s[6:7], 4
	v_mov_b32_e32 v15, 0
	v_addc_co_u32_e32 v5, vcc, v8, v5, vcc
	s_mov_b64 s[6:7], 0
	v_mov_b32_e32 v13, s5
	v_mov_b32_e32 v14, s11
	v_pk_mov_b32 v[8:9], v[0:1], v[0:1] op_sel:[0,1]
	v_mov_b32_e32 v1, v15
.LBB32_29:                              ; =>This Inner Loop Header: Depth=1
	global_load_ushort v15, v[4:5], off
	global_load_ushort v16, v[6:7], off
	v_add_co_u32_e32 v8, vcc, 8, v8
	v_addc_co_u32_e32 v9, vcc, 0, v9, vcc
	v_add_co_u32_e32 v6, vcc, s4, v6
	v_addc_co_u32_e32 v7, vcc, v7, v13, vcc
	;; [unrolled: 2-line block ×3, first 2 shown]
	v_cmp_le_i64_e32 vcc, s[8:9], v[8:9]
	s_or_b64 s[6:7], vcc, s[6:7]
	s_waitcnt vmcnt(0)
	v_fma_f16 v1, v15, v16, v1
	s_andn2_b64 exec, exec, s[6:7]
	s_cbranch_execnz .LBB32_29
; %bb.30:
	s_or_b64 exec, exec, s[6:7]
.LBB32_31:
	s_or_b64 exec, exec, s[2:3]
	v_lshlrev_b32_e32 v4, 1, v0
	v_lshl_or_b32 v4, v12, 4, v4
	v_cmp_gt_u32_e32 vcc, 4, v0
	ds_write_b16 v4, v1
	s_waitcnt lgkmcnt(0)
	s_barrier
	s_and_saveexec_b64 s[2:3], vcc
	s_cbranch_execz .LBB32_33
; %bb.32:
	ds_read_u16 v1, v4
	ds_read_u16 v5, v4 offset:8
	s_waitcnt lgkmcnt(0)
	v_add_f16_e32 v1, v5, v1
	ds_write_b16 v4, v1
.LBB32_33:
	s_or_b64 exec, exec, s[2:3]
	v_cmp_gt_u32_e32 vcc, 2, v0
	s_waitcnt lgkmcnt(0)
	s_barrier
	s_and_saveexec_b64 s[2:3], vcc
	s_cbranch_execz .LBB32_35
; %bb.34:
	ds_read_u16 v1, v4
	ds_read_u16 v5, v4 offset:4
	s_waitcnt lgkmcnt(0)
	v_add_f16_e32 v1, v5, v1
	ds_write_b16 v4, v1
.LBB32_35:
	s_or_b64 exec, exec, s[2:3]
	v_cmp_eq_u32_e32 vcc, 0, v0
	v_lshlrev_b32_e32 v0, 4, v12
	s_waitcnt lgkmcnt(0)
	s_barrier
	s_and_saveexec_b64 s[2:3], vcc
	s_cbranch_execz .LBB32_37
; %bb.36:
	ds_read_u16 v1, v0 offset:2
	ds_read_u16 v5, v4
	s_waitcnt lgkmcnt(0)
	v_add_f16_e32 v1, v1, v5
	ds_write_b16 v4, v1
.LBB32_37:
	s_or_b64 exec, exec, s[2:3]
	s_waitcnt lgkmcnt(0)
	s_barrier
	s_and_b64 exec, exec, vcc
	s_cbranch_execz .LBB32_39
; %bb.38:
	v_lshlrev_b64 v[2:3], 1, v[2:3]
	v_mov_b32_e32 v1, s1
	v_add_co_u32_e32 v2, vcc, s0, v2
	v_addc_co_u32_e32 v3, vcc, v1, v3, vcc
	global_load_ushort v1, v[2:3], off
	ds_read_u16 v0, v0
	s_waitcnt lgkmcnt(0)
	v_mul_f16_e32 v0, v10, v0
	s_waitcnt vmcnt(0)
	v_fma_f16 v0, v11, v1, v0
	global_store_short v[2:3], v0, off
.LBB32_39:
	s_endpgm
	.section	.rodata,"a",@progbits
	.p2align	6, 0x0
	.amdhsa_kernel _ZN9rocsparseL16sddmm_ell_kernelILi512ELi8EDF16_llDF16_DF16_DF16_EEv20rocsparse_operation_S1_16rocsparse_order_S2_T3_S3_S3_T2_NS_24const_host_device_scalarIT1_EEPKT4_lPKT5_lS7_PT6_PKS3_21rocsparse_index_base_b
		.amdhsa_group_segment_fixed_size 1024
		.amdhsa_private_segment_fixed_size 0
		.amdhsa_kernarg_size 120
		.amdhsa_user_sgpr_count 6
		.amdhsa_user_sgpr_private_segment_buffer 1
		.amdhsa_user_sgpr_dispatch_ptr 0
		.amdhsa_user_sgpr_queue_ptr 0
		.amdhsa_user_sgpr_kernarg_segment_ptr 1
		.amdhsa_user_sgpr_dispatch_id 0
		.amdhsa_user_sgpr_flat_scratch_init 0
		.amdhsa_user_sgpr_kernarg_preload_length 0
		.amdhsa_user_sgpr_kernarg_preload_offset 0
		.amdhsa_user_sgpr_private_segment_size 0
		.amdhsa_uses_dynamic_stack 0
		.amdhsa_system_sgpr_private_segment_wavefront_offset 0
		.amdhsa_system_sgpr_workgroup_id_x 1
		.amdhsa_system_sgpr_workgroup_id_y 0
		.amdhsa_system_sgpr_workgroup_id_z 0
		.amdhsa_system_sgpr_workgroup_info 0
		.amdhsa_system_vgpr_workitem_id 0
		.amdhsa_next_free_vgpr 17
		.amdhsa_next_free_sgpr 24
		.amdhsa_accum_offset 20
		.amdhsa_reserve_vcc 1
		.amdhsa_reserve_flat_scratch 0
		.amdhsa_float_round_mode_32 0
		.amdhsa_float_round_mode_16_64 0
		.amdhsa_float_denorm_mode_32 3
		.amdhsa_float_denorm_mode_16_64 3
		.amdhsa_dx10_clamp 1
		.amdhsa_ieee_mode 1
		.amdhsa_fp16_overflow 0
		.amdhsa_tg_split 0
		.amdhsa_exception_fp_ieee_invalid_op 0
		.amdhsa_exception_fp_denorm_src 0
		.amdhsa_exception_fp_ieee_div_zero 0
		.amdhsa_exception_fp_ieee_overflow 0
		.amdhsa_exception_fp_ieee_underflow 0
		.amdhsa_exception_fp_ieee_inexact 0
		.amdhsa_exception_int_div_zero 0
	.end_amdhsa_kernel
	.section	.text._ZN9rocsparseL16sddmm_ell_kernelILi512ELi8EDF16_llDF16_DF16_DF16_EEv20rocsparse_operation_S1_16rocsparse_order_S2_T3_S3_S3_T2_NS_24const_host_device_scalarIT1_EEPKT4_lPKT5_lS7_PT6_PKS3_21rocsparse_index_base_b,"axG",@progbits,_ZN9rocsparseL16sddmm_ell_kernelILi512ELi8EDF16_llDF16_DF16_DF16_EEv20rocsparse_operation_S1_16rocsparse_order_S2_T3_S3_S3_T2_NS_24const_host_device_scalarIT1_EEPKT4_lPKT5_lS7_PT6_PKS3_21rocsparse_index_base_b,comdat
.Lfunc_end32:
	.size	_ZN9rocsparseL16sddmm_ell_kernelILi512ELi8EDF16_llDF16_DF16_DF16_EEv20rocsparse_operation_S1_16rocsparse_order_S2_T3_S3_S3_T2_NS_24const_host_device_scalarIT1_EEPKT4_lPKT5_lS7_PT6_PKS3_21rocsparse_index_base_b, .Lfunc_end32-_ZN9rocsparseL16sddmm_ell_kernelILi512ELi8EDF16_llDF16_DF16_DF16_EEv20rocsparse_operation_S1_16rocsparse_order_S2_T3_S3_S3_T2_NS_24const_host_device_scalarIT1_EEPKT4_lPKT5_lS7_PT6_PKS3_21rocsparse_index_base_b
                                        ; -- End function
	.section	.AMDGPU.csdata,"",@progbits
; Kernel info:
; codeLenInByte = 1888
; NumSgprs: 28
; NumVgprs: 17
; NumAgprs: 0
; TotalNumVgprs: 17
; ScratchSize: 0
; MemoryBound: 0
; FloatMode: 240
; IeeeMode: 1
; LDSByteSize: 1024 bytes/workgroup (compile time only)
; SGPRBlocks: 3
; VGPRBlocks: 2
; NumSGPRsForWavesPerEU: 28
; NumVGPRsForWavesPerEU: 17
; AccumOffset: 20
; Occupancy: 8
; WaveLimiterHint : 0
; COMPUTE_PGM_RSRC2:SCRATCH_EN: 0
; COMPUTE_PGM_RSRC2:USER_SGPR: 6
; COMPUTE_PGM_RSRC2:TRAP_HANDLER: 0
; COMPUTE_PGM_RSRC2:TGID_X_EN: 1
; COMPUTE_PGM_RSRC2:TGID_Y_EN: 0
; COMPUTE_PGM_RSRC2:TGID_Z_EN: 0
; COMPUTE_PGM_RSRC2:TIDIG_COMP_CNT: 0
; COMPUTE_PGM_RSRC3_GFX90A:ACCUM_OFFSET: 4
; COMPUTE_PGM_RSRC3_GFX90A:TG_SPLIT: 0
	.section	.text._ZN9rocsparseL16sddmm_ell_kernelILi512ELi4EDF16_llDF16_DF16_DF16_EEv20rocsparse_operation_S1_16rocsparse_order_S2_T3_S3_S3_T2_NS_24const_host_device_scalarIT1_EEPKT4_lPKT5_lS7_PT6_PKS3_21rocsparse_index_base_b,"axG",@progbits,_ZN9rocsparseL16sddmm_ell_kernelILi512ELi4EDF16_llDF16_DF16_DF16_EEv20rocsparse_operation_S1_16rocsparse_order_S2_T3_S3_S3_T2_NS_24const_host_device_scalarIT1_EEPKT4_lPKT5_lS7_PT6_PKS3_21rocsparse_index_base_b,comdat
	.globl	_ZN9rocsparseL16sddmm_ell_kernelILi512ELi4EDF16_llDF16_DF16_DF16_EEv20rocsparse_operation_S1_16rocsparse_order_S2_T3_S3_S3_T2_NS_24const_host_device_scalarIT1_EEPKT4_lPKT5_lS7_PT6_PKS3_21rocsparse_index_base_b ; -- Begin function _ZN9rocsparseL16sddmm_ell_kernelILi512ELi4EDF16_llDF16_DF16_DF16_EEv20rocsparse_operation_S1_16rocsparse_order_S2_T3_S3_S3_T2_NS_24const_host_device_scalarIT1_EEPKT4_lPKT5_lS7_PT6_PKS3_21rocsparse_index_base_b
	.p2align	8
	.type	_ZN9rocsparseL16sddmm_ell_kernelILi512ELi4EDF16_llDF16_DF16_DF16_EEv20rocsparse_operation_S1_16rocsparse_order_S2_T3_S3_S3_T2_NS_24const_host_device_scalarIT1_EEPKT4_lPKT5_lS7_PT6_PKS3_21rocsparse_index_base_b,@function
_ZN9rocsparseL16sddmm_ell_kernelILi512ELi4EDF16_llDF16_DF16_DF16_EEv20rocsparse_operation_S1_16rocsparse_order_S2_T3_S3_S3_T2_NS_24const_host_device_scalarIT1_EEPKT4_lPKT5_lS7_PT6_PKS3_21rocsparse_index_base_b: ; @_ZN9rocsparseL16sddmm_ell_kernelILi512ELi4EDF16_llDF16_DF16_DF16_EEv20rocsparse_operation_S1_16rocsparse_order_S2_T3_S3_S3_T2_NS_24const_host_device_scalarIT1_EEPKT4_lPKT5_lS7_PT6_PKS3_21rocsparse_index_base_b
; %bb.0:
	s_load_dwordx2 s[16:17], s[4:5], 0x70
	s_load_dwordx2 s[2:3], s[4:5], 0x30
	s_load_dwordx4 s[12:15], s[4:5], 0x50
	s_waitcnt lgkmcnt(0)
	s_bitcmp1_b32 s17, 0
	s_cselect_b64 s[8:9], -1, 0
	s_xor_b64 s[0:1], s[8:9], -1
	s_and_b64 vcc, exec, s[8:9]
	v_mov_b32_e32 v10, s2
	s_cbranch_vccnz .LBB33_2
; %bb.1:
	v_mov_b32_e32 v1, 0
	global_load_ushort v10, v1, s[2:3]
.LBB33_2:
	s_andn2_b64 vcc, exec, s[0:1]
	v_mov_b32_e32 v11, s14
	s_cbranch_vccnz .LBB33_4
; %bb.3:
	v_mov_b32_e32 v1, 0
	global_load_ushort v11, v1, s[14:15]
.LBB33_4:
	s_waitcnt vmcnt(0)
	v_cmp_eq_f16_e32 vcc, 0, v10
	v_cmp_eq_f16_e64 s[0:1], 1.0, v11
	s_and_b64 s[0:1], vcc, s[0:1]
	s_and_b64 vcc, exec, s[0:1]
	s_cbranch_vccnz .LBB33_37
; %bb.5:
	s_load_dwordx4 s[8:11], s[4:5], 0x20
	v_lshrrev_b32_e32 v12, 2, v0
	v_lshl_or_b32 v2, s6, 7, v12
	v_mov_b32_e32 v3, 0
	s_waitcnt lgkmcnt(0)
	v_cmp_gt_i64_e32 vcc, s[10:11], v[2:3]
	s_and_saveexec_b64 s[0:1], vcc
	s_cbranch_execz .LBB33_37
; %bb.6:
	s_load_dwordx2 s[10:11], s[4:5], 0x10
	s_load_dwordx2 s[6:7], s[4:5], 0x68
	s_mov_b32 s0, 0
                                        ; implicit-def: $vgpr8_vgpr9
	s_waitcnt lgkmcnt(0)
	s_mov_b32 s1, s11
	s_cmp_lg_u64 s[0:1], 0
	s_cselect_b64 s[0:1], -1, 0
	s_and_saveexec_b64 s[2:3], s[0:1]
	s_xor_b64 s[14:15], exec, s[2:3]
	s_cbranch_execz .LBB33_8
; %bb.7:
	s_ashr_i32 s0, s11, 31
	s_add_u32 s2, s10, s0
	s_mov_b32 s1, s0
	s_addc_u32 s3, s11, s0
	s_xor_b64 s[18:19], s[2:3], s[0:1]
	v_cvt_f32_u32_e32 v1, s18
	v_cvt_f32_u32_e32 v4, s19
	s_sub_u32 s0, 0, s18
	s_subb_u32 s1, 0, s19
	v_madmk_f32 v1, v4, 0x4f800000, v1
	v_rcp_f32_e32 v1, v1
	v_mul_f32_e32 v1, 0x5f7ffffc, v1
	v_mul_f32_e32 v4, 0x2f800000, v1
	v_trunc_f32_e32 v4, v4
	v_madmk_f32 v1, v4, 0xcf800000, v1
	v_cvt_u32_f32_e32 v4, v4
	v_cvt_u32_f32_e32 v1, v1
	v_mul_lo_u32 v5, s0, v4
	v_mul_hi_u32 v7, s0, v1
	v_mul_lo_u32 v6, s1, v1
	v_add_u32_e32 v5, v7, v5
	v_mul_lo_u32 v8, s0, v1
	v_add_u32_e32 v5, v5, v6
	v_mul_lo_u32 v7, v1, v5
	v_mul_hi_u32 v9, v1, v8
	v_mul_hi_u32 v6, v1, v5
	v_add_co_u32_e32 v7, vcc, v9, v7
	v_addc_co_u32_e32 v6, vcc, 0, v6, vcc
	v_mul_hi_u32 v13, v4, v8
	v_mul_lo_u32 v8, v4, v8
	v_add_co_u32_e32 v7, vcc, v7, v8
	v_mul_hi_u32 v9, v4, v5
	v_addc_co_u32_e32 v6, vcc, v6, v13, vcc
	v_addc_co_u32_e32 v7, vcc, 0, v9, vcc
	v_mul_lo_u32 v5, v4, v5
	v_add_co_u32_e32 v5, vcc, v6, v5
	v_addc_co_u32_e32 v6, vcc, 0, v7, vcc
	v_add_co_u32_e32 v1, vcc, v1, v5
	v_addc_co_u32_e32 v4, vcc, v4, v6, vcc
	v_mul_lo_u32 v5, s0, v4
	v_mul_hi_u32 v6, s0, v1
	v_add_u32_e32 v5, v6, v5
	v_mul_lo_u32 v6, s1, v1
	v_add_u32_e32 v5, v5, v6
	v_mul_lo_u32 v7, s0, v1
	v_mul_hi_u32 v8, v4, v7
	v_mul_lo_u32 v9, v4, v7
	v_mul_lo_u32 v14, v1, v5
	v_mul_hi_u32 v7, v1, v7
	v_mul_hi_u32 v13, v1, v5
	v_add_co_u32_e32 v7, vcc, v7, v14
	v_addc_co_u32_e32 v13, vcc, 0, v13, vcc
	v_add_co_u32_e32 v7, vcc, v7, v9
	v_mul_hi_u32 v6, v4, v5
	v_addc_co_u32_e32 v7, vcc, v13, v8, vcc
	v_addc_co_u32_e32 v6, vcc, 0, v6, vcc
	v_mul_lo_u32 v5, v4, v5
	v_add_co_u32_e32 v5, vcc, v7, v5
	v_addc_co_u32_e32 v6, vcc, 0, v6, vcc
	v_add_co_u32_e32 v1, vcc, v1, v5
	v_addc_co_u32_e32 v6, vcc, v4, v6, vcc
	v_mad_u64_u32 v[4:5], s[0:1], v2, v6, 0
	v_mul_hi_u32 v7, v2, v1
	v_add_co_u32_e32 v8, vcc, v7, v4
	v_addc_co_u32_e32 v9, vcc, 0, v5, vcc
	v_mad_u64_u32 v[4:5], s[0:1], 0, v6, 0
	v_mad_u64_u32 v[6:7], s[0:1], 0, v1, 0
	v_add_co_u32_e32 v1, vcc, v8, v6
	v_addc_co_u32_e32 v1, vcc, v9, v7, vcc
	v_addc_co_u32_e32 v5, vcc, 0, v5, vcc
	v_add_co_u32_e32 v1, vcc, v1, v4
	v_addc_co_u32_e32 v4, vcc, 0, v5, vcc
	v_mul_lo_u32 v6, s19, v1
	v_mul_lo_u32 v7, s18, v4
	v_mad_u64_u32 v[4:5], s[0:1], s18, v1, 0
	v_add3_u32 v1, v5, v7, v6
	v_sub_u32_e32 v5, 0, v1
	v_mov_b32_e32 v6, s19
	v_sub_co_u32_e32 v4, vcc, v2, v4
	v_subb_co_u32_e64 v5, s[0:1], v5, v6, vcc
	v_subrev_co_u32_e64 v7, s[0:1], s18, v4
	v_subbrev_co_u32_e64 v8, s[2:3], 0, v5, s[0:1]
	v_cmp_le_u32_e64 s[2:3], s19, v8
	v_cndmask_b32_e64 v9, 0, -1, s[2:3]
	v_cmp_le_u32_e64 s[2:3], s18, v7
	v_subb_co_u32_e64 v5, s[0:1], v5, v6, s[0:1]
	v_cndmask_b32_e64 v13, 0, -1, s[2:3]
	v_cmp_eq_u32_e64 s[2:3], s19, v8
	v_subrev_co_u32_e64 v6, s[0:1], s18, v7
	v_cndmask_b32_e64 v9, v9, v13, s[2:3]
	v_subbrev_co_u32_e64 v5, s[0:1], 0, v5, s[0:1]
	v_subb_co_u32_e32 v1, vcc, 0, v1, vcc
	v_cmp_ne_u32_e64 s[0:1], 0, v9
	v_cmp_le_u32_e32 vcc, s19, v1
	v_cndmask_b32_e64 v5, v8, v5, s[0:1]
	v_cndmask_b32_e64 v8, 0, -1, vcc
	v_cmp_le_u32_e32 vcc, s18, v4
	v_cndmask_b32_e64 v9, 0, -1, vcc
	v_cmp_eq_u32_e32 vcc, s19, v1
	v_cndmask_b32_e32 v8, v8, v9, vcc
	v_cmp_ne_u32_e32 vcc, 0, v8
	v_cndmask_b32_e32 v1, v1, v5, vcc
	v_cndmask_b32_e64 v5, v7, v6, s[0:1]
	v_cndmask_b32_e32 v4, v4, v5, vcc
	v_subrev_co_u32_e32 v8, vcc, 0, v4
	v_subbrev_co_u32_e32 v9, vcc, 0, v1, vcc
.LBB33_8:
	s_andn2_saveexec_b64 s[0:1], s[14:15]
	s_cbranch_execz .LBB33_10
; %bb.9:
	v_cvt_f32_u32_e32 v1, s10
	s_sub_i32 s2, 0, s10
	v_mov_b32_e32 v9, 0
	v_rcp_iflag_f32_e32 v1, v1
	v_mul_f32_e32 v1, 0x4f7ffffe, v1
	v_cvt_u32_f32_e32 v1, v1
	v_mul_lo_u32 v4, s2, v1
	v_mul_hi_u32 v4, v1, v4
	v_add_u32_e32 v1, v1, v4
	v_mul_hi_u32 v1, v2, v1
	v_mul_lo_u32 v1, v1, s10
	v_sub_u32_e32 v1, v2, v1
	v_subrev_u32_e32 v4, s10, v1
	v_cmp_le_u32_e32 vcc, s10, v1
	v_cndmask_b32_e32 v1, v1, v4, vcc
	v_subrev_u32_e32 v4, s10, v1
	v_cmp_le_u32_e32 vcc, s10, v1
	v_cndmask_b32_e32 v8, v1, v4, vcc
.LBB33_10:
	s_or_b64 exec, exec, s[0:1]
	v_lshlrev_b64 v[4:5], 3, v[2:3]
	v_mov_b32_e32 v1, s7
	v_add_co_u32_e32 v4, vcc, s6, v4
	v_addc_co_u32_e32 v5, vcc, v1, v5, vcc
	global_load_dwordx2 v[4:5], v[4:5], off
	s_mov_b64 s[18:19], -1
	s_waitcnt vmcnt(0)
	v_subrev_co_u32_e32 v6, vcc, s16, v4
	v_subbrev_co_u32_e32 v7, vcc, 0, v5, vcc
	v_cmp_lt_i64_e32 vcc, -1, v[6:7]
	s_and_b64 exec, exec, vcc
	s_cbranch_execz .LBB33_37
; %bb.11:
	s_load_dwordx4 s[0:3], s[4:5], 0x0
	s_load_dwordx2 s[6:7], s[4:5], 0x40
	s_waitcnt lgkmcnt(0)
	s_cmp_eq_u32 s2, 1
	s_cselect_b64 s[10:11], -1, 0
	s_cmpk_eq_i32 s0, 0x6f
	s_cselect_b64 s[14:15], -1, 0
	s_cmpk_lg_i32 s0, 0x6f
	s_cselect_b64 s[16:17], -1, 0
	s_cmp_lg_u32 s2, 1
	s_cbranch_scc0 .LBB33_15
; %bb.12:
	s_andn2_b64 vcc, exec, s[14:15]
	v_pk_mov_b32 v[4:5], v[8:9], v[8:9] op_sel:[0,1]
	s_cbranch_vccnz .LBB33_14
; %bb.13:
	v_mul_lo_u32 v1, v9, s6
	v_mul_lo_u32 v13, v8, s7
	v_mad_u64_u32 v[4:5], s[18:19], v8, s6, 0
	v_add3_u32 v5, v5, v13, v1
.LBB33_14:
	s_cbranch_execz .LBB33_16
	s_branch .LBB33_19
.LBB33_15:
                                        ; implicit-def: $vgpr4_vgpr5
	s_andn2_b64 vcc, exec, s[18:19]
	s_cbranch_vccnz .LBB33_19
.LBB33_16:
	s_andn2_b64 vcc, exec, s[16:17]
	s_cbranch_vccnz .LBB33_18
; %bb.17:
	v_mul_lo_u32 v1, v9, s6
	v_mul_lo_u32 v4, v8, s7
	v_mad_u64_u32 v[8:9], s[16:17], v8, s6, 0
	v_add3_u32 v9, v9, v4, v1
.LBB33_18:
	v_pk_mov_b32 v[4:5], v[8:9], v[8:9] op_sel:[0,1]
.LBB33_19:
	s_cmp_eq_u32 s3, 1
	s_cselect_b64 s[16:17], -1, 0
	s_cmpk_eq_i32 s1, 0x6f
	s_cselect_b64 s[18:19], -1, 0
	s_cmpk_lg_i32 s1, 0x6f
	s_cselect_b64 s[0:1], -1, 0
	s_cmp_lg_u32 s3, 1
	s_cbranch_scc0 .LBB33_23
; %bb.20:
	s_andn2_b64 vcc, exec, s[0:1]
	v_pk_mov_b32 v[8:9], v[6:7], v[6:7] op_sel:[0,1]
	s_cbranch_vccnz .LBB33_22
; %bb.21:
	v_mul_lo_u32 v1, v7, s12
	v_mul_lo_u32 v13, v6, s13
	v_mad_u64_u32 v[8:9], s[0:1], v6, s12, 0
	v_add3_u32 v9, v9, v13, v1
.LBB33_22:
	s_cbranch_execz .LBB33_24
	s_branch .LBB33_27
.LBB33_23:
                                        ; implicit-def: $vgpr8_vgpr9
.LBB33_24:
	s_andn2_b64 vcc, exec, s[18:19]
	s_cbranch_vccnz .LBB33_26
; %bb.25:
	v_mul_lo_u32 v1, v7, s12
	v_mul_lo_u32 v8, v6, s13
	v_mad_u64_u32 v[6:7], s[0:1], v6, s12, 0
	v_add3_u32 v7, v7, v8, v1
.LBB33_26:
	v_pk_mov_b32 v[8:9], v[6:7], v[6:7] op_sel:[0,1]
.LBB33_27:
	s_load_dwordx2 s[0:1], s[4:5], 0x60
	v_and_b32_e32 v0, 3, v0
	v_mov_b32_e32 v1, 0
	v_cmp_gt_i64_e32 vcc, s[8:9], v[0:1]
	s_and_saveexec_b64 s[2:3], vcc
	s_cbranch_execz .LBB33_31
; %bb.28:
	s_load_dwordx2 s[20:21], s[4:5], 0x38
	s_load_dwordx2 s[22:23], s[4:5], 0x48
	s_xor_b64 s[4:5], s[14:15], s[10:11]
	s_and_b64 s[4:5], s[4:5], exec
	s_cselect_b32 s7, 0, s7
	s_cselect_b32 s6, 1, s6
	s_xor_b64 s[4:5], s[18:19], s[16:17]
	s_and_b64 s[4:5], s[4:5], exec
	s_cselect_b32 s4, s12, 1
	v_mad_u64_u32 v[6:7], s[10:11], s4, v0, 0
	s_cselect_b32 s5, s13, 0
	v_mov_b32_e32 v14, v7
	v_mad_u64_u32 v[14:15], s[10:11], s5, v0, v[14:15]
	v_mov_b32_e32 v7, v14
	v_lshlrev_b64 v[6:7], 1, v[6:7]
	v_lshlrev_b64 v[8:9], 1, v[8:9]
	v_add_co_u32_e32 v6, vcc, v6, v8
	v_addc_co_u32_e32 v7, vcc, v7, v9, vcc
	s_waitcnt lgkmcnt(0)
	v_mov_b32_e32 v8, s23
	v_add_co_u32_e32 v6, vcc, s22, v6
	v_addc_co_u32_e32 v7, vcc, v8, v7, vcc
	v_mad_u64_u32 v[8:9], s[10:11], s6, v0, 0
	v_mov_b32_e32 v14, v9
	v_mad_u64_u32 v[14:15], s[10:11], s7, v0, v[14:15]
	v_mov_b32_e32 v9, v14
	v_lshlrev_b64 v[8:9], 1, v[8:9]
	v_lshlrev_b64 v[4:5], 1, v[4:5]
	v_add_co_u32_e32 v4, vcc, v8, v4
	v_addc_co_u32_e32 v5, vcc, v9, v5, vcc
	s_lshl_b64 s[4:5], s[4:5], 3
	v_mov_b32_e32 v8, s21
	v_add_co_u32_e32 v4, vcc, s20, v4
	s_lshl_b64 s[10:11], s[6:7], 3
	v_mov_b32_e32 v15, 0
	v_addc_co_u32_e32 v5, vcc, v8, v5, vcc
	s_mov_b64 s[6:7], 0
	v_mov_b32_e32 v13, s5
	v_mov_b32_e32 v14, s11
	v_pk_mov_b32 v[8:9], v[0:1], v[0:1] op_sel:[0,1]
	v_mov_b32_e32 v1, v15
.LBB33_29:                              ; =>This Inner Loop Header: Depth=1
	global_load_ushort v15, v[4:5], off
	global_load_ushort v16, v[6:7], off
	v_add_co_u32_e32 v8, vcc, 4, v8
	v_addc_co_u32_e32 v9, vcc, 0, v9, vcc
	v_add_co_u32_e32 v6, vcc, s4, v6
	v_addc_co_u32_e32 v7, vcc, v7, v13, vcc
	;; [unrolled: 2-line block ×3, first 2 shown]
	v_cmp_le_i64_e32 vcc, s[8:9], v[8:9]
	s_or_b64 s[6:7], vcc, s[6:7]
	s_waitcnt vmcnt(0)
	v_fma_f16 v1, v15, v16, v1
	s_andn2_b64 exec, exec, s[6:7]
	s_cbranch_execnz .LBB33_29
; %bb.30:
	s_or_b64 exec, exec, s[6:7]
.LBB33_31:
	s_or_b64 exec, exec, s[2:3]
	v_lshlrev_b32_e32 v4, 1, v0
	v_lshl_or_b32 v4, v12, 3, v4
	v_cmp_gt_u32_e32 vcc, 2, v0
	ds_write_b16 v4, v1
	s_waitcnt lgkmcnt(0)
	s_barrier
	s_and_saveexec_b64 s[2:3], vcc
	s_cbranch_execz .LBB33_33
; %bb.32:
	ds_read_u16 v1, v4
	ds_read_u16 v5, v4 offset:4
	s_waitcnt lgkmcnt(0)
	v_add_f16_e32 v1, v5, v1
	ds_write_b16 v4, v1
.LBB33_33:
	s_or_b64 exec, exec, s[2:3]
	v_cmp_eq_u32_e32 vcc, 0, v0
	v_lshlrev_b32_e32 v0, 3, v12
	s_waitcnt lgkmcnt(0)
	s_barrier
	s_and_saveexec_b64 s[2:3], vcc
	s_cbranch_execz .LBB33_35
; %bb.34:
	ds_read_u16 v1, v0 offset:2
	ds_read_u16 v5, v4
	s_waitcnt lgkmcnt(0)
	v_add_f16_e32 v1, v1, v5
	ds_write_b16 v4, v1
.LBB33_35:
	s_or_b64 exec, exec, s[2:3]
	s_waitcnt lgkmcnt(0)
	s_barrier
	s_and_b64 exec, exec, vcc
	s_cbranch_execz .LBB33_37
; %bb.36:
	v_lshlrev_b64 v[2:3], 1, v[2:3]
	v_mov_b32_e32 v1, s1
	v_add_co_u32_e32 v2, vcc, s0, v2
	v_addc_co_u32_e32 v3, vcc, v1, v3, vcc
	global_load_ushort v1, v[2:3], off
	ds_read_u16 v0, v0
	s_waitcnt lgkmcnt(0)
	v_mul_f16_e32 v0, v10, v0
	s_waitcnt vmcnt(0)
	v_fma_f16 v0, v11, v1, v0
	global_store_short v[2:3], v0, off
.LBB33_37:
	s_endpgm
	.section	.rodata,"a",@progbits
	.p2align	6, 0x0
	.amdhsa_kernel _ZN9rocsparseL16sddmm_ell_kernelILi512ELi4EDF16_llDF16_DF16_DF16_EEv20rocsparse_operation_S1_16rocsparse_order_S2_T3_S3_S3_T2_NS_24const_host_device_scalarIT1_EEPKT4_lPKT5_lS7_PT6_PKS3_21rocsparse_index_base_b
		.amdhsa_group_segment_fixed_size 1024
		.amdhsa_private_segment_fixed_size 0
		.amdhsa_kernarg_size 120
		.amdhsa_user_sgpr_count 6
		.amdhsa_user_sgpr_private_segment_buffer 1
		.amdhsa_user_sgpr_dispatch_ptr 0
		.amdhsa_user_sgpr_queue_ptr 0
		.amdhsa_user_sgpr_kernarg_segment_ptr 1
		.amdhsa_user_sgpr_dispatch_id 0
		.amdhsa_user_sgpr_flat_scratch_init 0
		.amdhsa_user_sgpr_kernarg_preload_length 0
		.amdhsa_user_sgpr_kernarg_preload_offset 0
		.amdhsa_user_sgpr_private_segment_size 0
		.amdhsa_uses_dynamic_stack 0
		.amdhsa_system_sgpr_private_segment_wavefront_offset 0
		.amdhsa_system_sgpr_workgroup_id_x 1
		.amdhsa_system_sgpr_workgroup_id_y 0
		.amdhsa_system_sgpr_workgroup_id_z 0
		.amdhsa_system_sgpr_workgroup_info 0
		.amdhsa_system_vgpr_workitem_id 0
		.amdhsa_next_free_vgpr 17
		.amdhsa_next_free_sgpr 24
		.amdhsa_accum_offset 20
		.amdhsa_reserve_vcc 1
		.amdhsa_reserve_flat_scratch 0
		.amdhsa_float_round_mode_32 0
		.amdhsa_float_round_mode_16_64 0
		.amdhsa_float_denorm_mode_32 3
		.amdhsa_float_denorm_mode_16_64 3
		.amdhsa_dx10_clamp 1
		.amdhsa_ieee_mode 1
		.amdhsa_fp16_overflow 0
		.amdhsa_tg_split 0
		.amdhsa_exception_fp_ieee_invalid_op 0
		.amdhsa_exception_fp_denorm_src 0
		.amdhsa_exception_fp_ieee_div_zero 0
		.amdhsa_exception_fp_ieee_overflow 0
		.amdhsa_exception_fp_ieee_underflow 0
		.amdhsa_exception_fp_ieee_inexact 0
		.amdhsa_exception_int_div_zero 0
	.end_amdhsa_kernel
	.section	.text._ZN9rocsparseL16sddmm_ell_kernelILi512ELi4EDF16_llDF16_DF16_DF16_EEv20rocsparse_operation_S1_16rocsparse_order_S2_T3_S3_S3_T2_NS_24const_host_device_scalarIT1_EEPKT4_lPKT5_lS7_PT6_PKS3_21rocsparse_index_base_b,"axG",@progbits,_ZN9rocsparseL16sddmm_ell_kernelILi512ELi4EDF16_llDF16_DF16_DF16_EEv20rocsparse_operation_S1_16rocsparse_order_S2_T3_S3_S3_T2_NS_24const_host_device_scalarIT1_EEPKT4_lPKT5_lS7_PT6_PKS3_21rocsparse_index_base_b,comdat
.Lfunc_end33:
	.size	_ZN9rocsparseL16sddmm_ell_kernelILi512ELi4EDF16_llDF16_DF16_DF16_EEv20rocsparse_operation_S1_16rocsparse_order_S2_T3_S3_S3_T2_NS_24const_host_device_scalarIT1_EEPKT4_lPKT5_lS7_PT6_PKS3_21rocsparse_index_base_b, .Lfunc_end33-_ZN9rocsparseL16sddmm_ell_kernelILi512ELi4EDF16_llDF16_DF16_DF16_EEv20rocsparse_operation_S1_16rocsparse_order_S2_T3_S3_S3_T2_NS_24const_host_device_scalarIT1_EEPKT4_lPKT5_lS7_PT6_PKS3_21rocsparse_index_base_b
                                        ; -- End function
	.section	.AMDGPU.csdata,"",@progbits
; Kernel info:
; codeLenInByte = 1832
; NumSgprs: 28
; NumVgprs: 17
; NumAgprs: 0
; TotalNumVgprs: 17
; ScratchSize: 0
; MemoryBound: 0
; FloatMode: 240
; IeeeMode: 1
; LDSByteSize: 1024 bytes/workgroup (compile time only)
; SGPRBlocks: 3
; VGPRBlocks: 2
; NumSGPRsForWavesPerEU: 28
; NumVGPRsForWavesPerEU: 17
; AccumOffset: 20
; Occupancy: 8
; WaveLimiterHint : 0
; COMPUTE_PGM_RSRC2:SCRATCH_EN: 0
; COMPUTE_PGM_RSRC2:USER_SGPR: 6
; COMPUTE_PGM_RSRC2:TRAP_HANDLER: 0
; COMPUTE_PGM_RSRC2:TGID_X_EN: 1
; COMPUTE_PGM_RSRC2:TGID_Y_EN: 0
; COMPUTE_PGM_RSRC2:TGID_Z_EN: 0
; COMPUTE_PGM_RSRC2:TIDIG_COMP_CNT: 0
; COMPUTE_PGM_RSRC3_GFX90A:ACCUM_OFFSET: 4
; COMPUTE_PGM_RSRC3_GFX90A:TG_SPLIT: 0
	.section	.text._ZN9rocsparseL16sddmm_ell_kernelILi512ELi2EDF16_llDF16_DF16_DF16_EEv20rocsparse_operation_S1_16rocsparse_order_S2_T3_S3_S3_T2_NS_24const_host_device_scalarIT1_EEPKT4_lPKT5_lS7_PT6_PKS3_21rocsparse_index_base_b,"axG",@progbits,_ZN9rocsparseL16sddmm_ell_kernelILi512ELi2EDF16_llDF16_DF16_DF16_EEv20rocsparse_operation_S1_16rocsparse_order_S2_T3_S3_S3_T2_NS_24const_host_device_scalarIT1_EEPKT4_lPKT5_lS7_PT6_PKS3_21rocsparse_index_base_b,comdat
	.globl	_ZN9rocsparseL16sddmm_ell_kernelILi512ELi2EDF16_llDF16_DF16_DF16_EEv20rocsparse_operation_S1_16rocsparse_order_S2_T3_S3_S3_T2_NS_24const_host_device_scalarIT1_EEPKT4_lPKT5_lS7_PT6_PKS3_21rocsparse_index_base_b ; -- Begin function _ZN9rocsparseL16sddmm_ell_kernelILi512ELi2EDF16_llDF16_DF16_DF16_EEv20rocsparse_operation_S1_16rocsparse_order_S2_T3_S3_S3_T2_NS_24const_host_device_scalarIT1_EEPKT4_lPKT5_lS7_PT6_PKS3_21rocsparse_index_base_b
	.p2align	8
	.type	_ZN9rocsparseL16sddmm_ell_kernelILi512ELi2EDF16_llDF16_DF16_DF16_EEv20rocsparse_operation_S1_16rocsparse_order_S2_T3_S3_S3_T2_NS_24const_host_device_scalarIT1_EEPKT4_lPKT5_lS7_PT6_PKS3_21rocsparse_index_base_b,@function
_ZN9rocsparseL16sddmm_ell_kernelILi512ELi2EDF16_llDF16_DF16_DF16_EEv20rocsparse_operation_S1_16rocsparse_order_S2_T3_S3_S3_T2_NS_24const_host_device_scalarIT1_EEPKT4_lPKT5_lS7_PT6_PKS3_21rocsparse_index_base_b: ; @_ZN9rocsparseL16sddmm_ell_kernelILi512ELi2EDF16_llDF16_DF16_DF16_EEv20rocsparse_operation_S1_16rocsparse_order_S2_T3_S3_S3_T2_NS_24const_host_device_scalarIT1_EEPKT4_lPKT5_lS7_PT6_PKS3_21rocsparse_index_base_b
; %bb.0:
	s_load_dwordx2 s[16:17], s[4:5], 0x70
	s_load_dwordx2 s[2:3], s[4:5], 0x30
	s_load_dwordx4 s[12:15], s[4:5], 0x50
	s_waitcnt lgkmcnt(0)
	s_bitcmp1_b32 s17, 0
	s_cselect_b64 s[8:9], -1, 0
	s_xor_b64 s[0:1], s[8:9], -1
	s_and_b64 vcc, exec, s[8:9]
	v_mov_b32_e32 v10, s2
	s_cbranch_vccnz .LBB34_2
; %bb.1:
	v_mov_b32_e32 v1, 0
	global_load_ushort v10, v1, s[2:3]
.LBB34_2:
	s_andn2_b64 vcc, exec, s[0:1]
	v_mov_b32_e32 v11, s14
	s_cbranch_vccnz .LBB34_4
; %bb.3:
	v_mov_b32_e32 v1, 0
	global_load_ushort v11, v1, s[14:15]
.LBB34_4:
	s_waitcnt vmcnt(0)
	v_cmp_eq_f16_e32 vcc, 0, v10
	v_cmp_eq_f16_e64 s[0:1], 1.0, v11
	s_and_b64 s[0:1], vcc, s[0:1]
	s_and_b64 vcc, exec, s[0:1]
	s_cbranch_vccnz .LBB34_35
; %bb.5:
	s_load_dwordx4 s[8:11], s[4:5], 0x20
	v_lshrrev_b32_e32 v12, 1, v0
	v_lshl_or_b32 v2, s6, 8, v12
	v_mov_b32_e32 v3, 0
	s_waitcnt lgkmcnt(0)
	v_cmp_gt_i64_e32 vcc, s[10:11], v[2:3]
	s_and_saveexec_b64 s[0:1], vcc
	s_cbranch_execz .LBB34_35
; %bb.6:
	s_load_dwordx2 s[10:11], s[4:5], 0x10
	s_load_dwordx2 s[6:7], s[4:5], 0x68
	s_mov_b32 s0, 0
                                        ; implicit-def: $vgpr8_vgpr9
	s_waitcnt lgkmcnt(0)
	s_mov_b32 s1, s11
	s_cmp_lg_u64 s[0:1], 0
	s_cselect_b64 s[0:1], -1, 0
	s_and_saveexec_b64 s[2:3], s[0:1]
	s_xor_b64 s[14:15], exec, s[2:3]
	s_cbranch_execz .LBB34_8
; %bb.7:
	s_ashr_i32 s0, s11, 31
	s_add_u32 s2, s10, s0
	s_mov_b32 s1, s0
	s_addc_u32 s3, s11, s0
	s_xor_b64 s[18:19], s[2:3], s[0:1]
	v_cvt_f32_u32_e32 v1, s18
	v_cvt_f32_u32_e32 v4, s19
	s_sub_u32 s0, 0, s18
	s_subb_u32 s1, 0, s19
	v_madmk_f32 v1, v4, 0x4f800000, v1
	v_rcp_f32_e32 v1, v1
	v_mul_f32_e32 v1, 0x5f7ffffc, v1
	v_mul_f32_e32 v4, 0x2f800000, v1
	v_trunc_f32_e32 v4, v4
	v_madmk_f32 v1, v4, 0xcf800000, v1
	v_cvt_u32_f32_e32 v4, v4
	v_cvt_u32_f32_e32 v1, v1
	v_mul_lo_u32 v5, s0, v4
	v_mul_hi_u32 v7, s0, v1
	v_mul_lo_u32 v6, s1, v1
	v_add_u32_e32 v5, v7, v5
	v_mul_lo_u32 v8, s0, v1
	v_add_u32_e32 v5, v5, v6
	v_mul_lo_u32 v7, v1, v5
	v_mul_hi_u32 v9, v1, v8
	v_mul_hi_u32 v6, v1, v5
	v_add_co_u32_e32 v7, vcc, v9, v7
	v_addc_co_u32_e32 v6, vcc, 0, v6, vcc
	v_mul_hi_u32 v13, v4, v8
	v_mul_lo_u32 v8, v4, v8
	v_add_co_u32_e32 v7, vcc, v7, v8
	v_mul_hi_u32 v9, v4, v5
	v_addc_co_u32_e32 v6, vcc, v6, v13, vcc
	v_addc_co_u32_e32 v7, vcc, 0, v9, vcc
	v_mul_lo_u32 v5, v4, v5
	v_add_co_u32_e32 v5, vcc, v6, v5
	v_addc_co_u32_e32 v6, vcc, 0, v7, vcc
	v_add_co_u32_e32 v1, vcc, v1, v5
	v_addc_co_u32_e32 v4, vcc, v4, v6, vcc
	v_mul_lo_u32 v5, s0, v4
	v_mul_hi_u32 v6, s0, v1
	v_add_u32_e32 v5, v6, v5
	v_mul_lo_u32 v6, s1, v1
	v_add_u32_e32 v5, v5, v6
	v_mul_lo_u32 v7, s0, v1
	v_mul_hi_u32 v8, v4, v7
	v_mul_lo_u32 v9, v4, v7
	v_mul_lo_u32 v14, v1, v5
	v_mul_hi_u32 v7, v1, v7
	v_mul_hi_u32 v13, v1, v5
	v_add_co_u32_e32 v7, vcc, v7, v14
	v_addc_co_u32_e32 v13, vcc, 0, v13, vcc
	v_add_co_u32_e32 v7, vcc, v7, v9
	v_mul_hi_u32 v6, v4, v5
	v_addc_co_u32_e32 v7, vcc, v13, v8, vcc
	v_addc_co_u32_e32 v6, vcc, 0, v6, vcc
	v_mul_lo_u32 v5, v4, v5
	v_add_co_u32_e32 v5, vcc, v7, v5
	v_addc_co_u32_e32 v6, vcc, 0, v6, vcc
	v_add_co_u32_e32 v1, vcc, v1, v5
	v_addc_co_u32_e32 v6, vcc, v4, v6, vcc
	v_mad_u64_u32 v[4:5], s[0:1], v2, v6, 0
	v_mul_hi_u32 v7, v2, v1
	v_add_co_u32_e32 v8, vcc, v7, v4
	v_addc_co_u32_e32 v9, vcc, 0, v5, vcc
	v_mad_u64_u32 v[4:5], s[0:1], 0, v6, 0
	v_mad_u64_u32 v[6:7], s[0:1], 0, v1, 0
	v_add_co_u32_e32 v1, vcc, v8, v6
	v_addc_co_u32_e32 v1, vcc, v9, v7, vcc
	v_addc_co_u32_e32 v5, vcc, 0, v5, vcc
	v_add_co_u32_e32 v1, vcc, v1, v4
	v_addc_co_u32_e32 v4, vcc, 0, v5, vcc
	v_mul_lo_u32 v6, s19, v1
	v_mul_lo_u32 v7, s18, v4
	v_mad_u64_u32 v[4:5], s[0:1], s18, v1, 0
	v_add3_u32 v1, v5, v7, v6
	v_sub_u32_e32 v5, 0, v1
	v_mov_b32_e32 v6, s19
	v_sub_co_u32_e32 v4, vcc, v2, v4
	v_subb_co_u32_e64 v5, s[0:1], v5, v6, vcc
	v_subrev_co_u32_e64 v7, s[0:1], s18, v4
	v_subbrev_co_u32_e64 v8, s[2:3], 0, v5, s[0:1]
	v_cmp_le_u32_e64 s[2:3], s19, v8
	v_cndmask_b32_e64 v9, 0, -1, s[2:3]
	v_cmp_le_u32_e64 s[2:3], s18, v7
	v_subb_co_u32_e64 v5, s[0:1], v5, v6, s[0:1]
	v_cndmask_b32_e64 v13, 0, -1, s[2:3]
	v_cmp_eq_u32_e64 s[2:3], s19, v8
	v_subrev_co_u32_e64 v6, s[0:1], s18, v7
	v_cndmask_b32_e64 v9, v9, v13, s[2:3]
	v_subbrev_co_u32_e64 v5, s[0:1], 0, v5, s[0:1]
	v_subb_co_u32_e32 v1, vcc, 0, v1, vcc
	v_cmp_ne_u32_e64 s[0:1], 0, v9
	v_cmp_le_u32_e32 vcc, s19, v1
	v_cndmask_b32_e64 v5, v8, v5, s[0:1]
	v_cndmask_b32_e64 v8, 0, -1, vcc
	v_cmp_le_u32_e32 vcc, s18, v4
	v_cndmask_b32_e64 v9, 0, -1, vcc
	v_cmp_eq_u32_e32 vcc, s19, v1
	v_cndmask_b32_e32 v8, v8, v9, vcc
	v_cmp_ne_u32_e32 vcc, 0, v8
	v_cndmask_b32_e32 v1, v1, v5, vcc
	v_cndmask_b32_e64 v5, v7, v6, s[0:1]
	v_cndmask_b32_e32 v4, v4, v5, vcc
	v_subrev_co_u32_e32 v8, vcc, 0, v4
	v_subbrev_co_u32_e32 v9, vcc, 0, v1, vcc
.LBB34_8:
	s_andn2_saveexec_b64 s[0:1], s[14:15]
	s_cbranch_execz .LBB34_10
; %bb.9:
	v_cvt_f32_u32_e32 v1, s10
	s_sub_i32 s2, 0, s10
	v_mov_b32_e32 v9, 0
	v_rcp_iflag_f32_e32 v1, v1
	v_mul_f32_e32 v1, 0x4f7ffffe, v1
	v_cvt_u32_f32_e32 v1, v1
	v_mul_lo_u32 v4, s2, v1
	v_mul_hi_u32 v4, v1, v4
	v_add_u32_e32 v1, v1, v4
	v_mul_hi_u32 v1, v2, v1
	v_mul_lo_u32 v1, v1, s10
	v_sub_u32_e32 v1, v2, v1
	v_subrev_u32_e32 v4, s10, v1
	v_cmp_le_u32_e32 vcc, s10, v1
	v_cndmask_b32_e32 v1, v1, v4, vcc
	v_subrev_u32_e32 v4, s10, v1
	v_cmp_le_u32_e32 vcc, s10, v1
	v_cndmask_b32_e32 v8, v1, v4, vcc
.LBB34_10:
	s_or_b64 exec, exec, s[0:1]
	v_lshlrev_b64 v[4:5], 3, v[2:3]
	v_mov_b32_e32 v1, s7
	v_add_co_u32_e32 v4, vcc, s6, v4
	v_addc_co_u32_e32 v5, vcc, v1, v5, vcc
	global_load_dwordx2 v[4:5], v[4:5], off
	s_mov_b64 s[18:19], -1
	s_waitcnt vmcnt(0)
	v_subrev_co_u32_e32 v6, vcc, s16, v4
	v_subbrev_co_u32_e32 v7, vcc, 0, v5, vcc
	v_cmp_lt_i64_e32 vcc, -1, v[6:7]
	s_and_b64 exec, exec, vcc
	s_cbranch_execz .LBB34_35
; %bb.11:
	s_load_dwordx4 s[0:3], s[4:5], 0x0
	s_load_dwordx2 s[6:7], s[4:5], 0x40
	s_waitcnt lgkmcnt(0)
	s_cmp_eq_u32 s2, 1
	s_cselect_b64 s[10:11], -1, 0
	s_cmpk_eq_i32 s0, 0x6f
	s_cselect_b64 s[14:15], -1, 0
	s_cmpk_lg_i32 s0, 0x6f
	s_cselect_b64 s[16:17], -1, 0
	s_cmp_lg_u32 s2, 1
	s_cbranch_scc0 .LBB34_15
; %bb.12:
	s_andn2_b64 vcc, exec, s[14:15]
	v_pk_mov_b32 v[4:5], v[8:9], v[8:9] op_sel:[0,1]
	s_cbranch_vccnz .LBB34_14
; %bb.13:
	v_mul_lo_u32 v1, v9, s6
	v_mul_lo_u32 v13, v8, s7
	v_mad_u64_u32 v[4:5], s[18:19], v8, s6, 0
	v_add3_u32 v5, v5, v13, v1
.LBB34_14:
	s_cbranch_execz .LBB34_16
	s_branch .LBB34_19
.LBB34_15:
                                        ; implicit-def: $vgpr4_vgpr5
	s_andn2_b64 vcc, exec, s[18:19]
	s_cbranch_vccnz .LBB34_19
.LBB34_16:
	s_andn2_b64 vcc, exec, s[16:17]
	s_cbranch_vccnz .LBB34_18
; %bb.17:
	v_mul_lo_u32 v1, v9, s6
	v_mul_lo_u32 v4, v8, s7
	v_mad_u64_u32 v[8:9], s[16:17], v8, s6, 0
	v_add3_u32 v9, v9, v4, v1
.LBB34_18:
	v_pk_mov_b32 v[4:5], v[8:9], v[8:9] op_sel:[0,1]
.LBB34_19:
	s_cmp_eq_u32 s3, 1
	s_cselect_b64 s[16:17], -1, 0
	s_cmpk_eq_i32 s1, 0x6f
	s_cselect_b64 s[18:19], -1, 0
	s_cmpk_lg_i32 s1, 0x6f
	s_cselect_b64 s[0:1], -1, 0
	s_cmp_lg_u32 s3, 1
	s_cbranch_scc0 .LBB34_23
; %bb.20:
	s_andn2_b64 vcc, exec, s[0:1]
	v_pk_mov_b32 v[8:9], v[6:7], v[6:7] op_sel:[0,1]
	s_cbranch_vccnz .LBB34_22
; %bb.21:
	v_mul_lo_u32 v1, v7, s12
	v_mul_lo_u32 v13, v6, s13
	v_mad_u64_u32 v[8:9], s[0:1], v6, s12, 0
	v_add3_u32 v9, v9, v13, v1
.LBB34_22:
	s_cbranch_execz .LBB34_24
	s_branch .LBB34_27
.LBB34_23:
                                        ; implicit-def: $vgpr8_vgpr9
.LBB34_24:
	s_andn2_b64 vcc, exec, s[18:19]
	s_cbranch_vccnz .LBB34_26
; %bb.25:
	v_mul_lo_u32 v1, v7, s12
	v_mul_lo_u32 v8, v6, s13
	v_mad_u64_u32 v[6:7], s[0:1], v6, s12, 0
	v_add3_u32 v7, v7, v8, v1
.LBB34_26:
	v_pk_mov_b32 v[8:9], v[6:7], v[6:7] op_sel:[0,1]
.LBB34_27:
	s_load_dwordx2 s[0:1], s[4:5], 0x60
	v_and_b32_e32 v0, 1, v0
	v_mov_b32_e32 v1, 0
	v_cmp_gt_i64_e32 vcc, s[8:9], v[0:1]
	s_and_saveexec_b64 s[2:3], vcc
	s_cbranch_execz .LBB34_31
; %bb.28:
	s_load_dwordx2 s[20:21], s[4:5], 0x38
	s_load_dwordx2 s[22:23], s[4:5], 0x48
	s_xor_b64 s[4:5], s[14:15], s[10:11]
	s_and_b64 s[4:5], s[4:5], exec
	s_cselect_b32 s7, 0, s7
	s_cselect_b32 s6, 1, s6
	s_xor_b64 s[4:5], s[18:19], s[16:17]
	s_and_b64 s[4:5], s[4:5], exec
	s_cselect_b32 s5, s13, 0
	s_cselect_b32 s4, s12, 1
	v_mul_lo_u32 v7, s5, v0
	v_mul_lo_u32 v6, s4, v0
	v_lshlrev_b64 v[6:7], 1, v[6:7]
	v_lshlrev_b64 v[8:9], 1, v[8:9]
	v_add_co_u32_e32 v6, vcc, v6, v8
	v_addc_co_u32_e32 v7, vcc, v7, v9, vcc
	s_waitcnt lgkmcnt(0)
	v_mov_b32_e32 v8, s23
	v_add_co_u32_e32 v6, vcc, s22, v6
	v_addc_co_u32_e32 v7, vcc, v8, v7, vcc
	v_mul_lo_u32 v9, s7, v0
	v_mul_lo_u32 v8, s6, v0
	v_lshlrev_b64 v[8:9], 1, v[8:9]
	v_lshlrev_b64 v[4:5], 1, v[4:5]
	v_add_co_u32_e32 v4, vcc, v8, v4
	v_addc_co_u32_e32 v5, vcc, v9, v5, vcc
	s_lshl_b64 s[4:5], s[4:5], 2
	v_mov_b32_e32 v8, s21
	v_add_co_u32_e32 v4, vcc, s20, v4
	s_lshl_b64 s[10:11], s[6:7], 2
	v_mov_b32_e32 v15, 0
	v_addc_co_u32_e32 v5, vcc, v8, v5, vcc
	s_mov_b64 s[6:7], 0
	v_mov_b32_e32 v13, s5
	v_mov_b32_e32 v14, s11
	v_pk_mov_b32 v[8:9], v[0:1], v[0:1] op_sel:[0,1]
	v_mov_b32_e32 v1, v15
.LBB34_29:                              ; =>This Inner Loop Header: Depth=1
	global_load_ushort v15, v[4:5], off
	global_load_ushort v16, v[6:7], off
	v_add_co_u32_e32 v8, vcc, 2, v8
	v_addc_co_u32_e32 v9, vcc, 0, v9, vcc
	v_add_co_u32_e32 v6, vcc, s4, v6
	v_addc_co_u32_e32 v7, vcc, v7, v13, vcc
	;; [unrolled: 2-line block ×3, first 2 shown]
	v_cmp_le_i64_e32 vcc, s[8:9], v[8:9]
	s_or_b64 s[6:7], vcc, s[6:7]
	s_waitcnt vmcnt(0)
	v_fma_f16 v1, v15, v16, v1
	s_andn2_b64 exec, exec, s[6:7]
	s_cbranch_execnz .LBB34_29
; %bb.30:
	s_or_b64 exec, exec, s[6:7]
.LBB34_31:
	s_or_b64 exec, exec, s[2:3]
	v_lshlrev_b32_e32 v4, 2, v12
	v_lshl_or_b32 v5, v0, 1, v4
	v_cmp_eq_u32_e32 vcc, 0, v0
	ds_write_b16 v5, v1
	s_waitcnt lgkmcnt(0)
	s_barrier
	s_and_saveexec_b64 s[2:3], vcc
	s_cbranch_execz .LBB34_33
; %bb.32:
	ds_read_u16 v0, v4 offset:2
	ds_read_u16 v1, v5
	s_waitcnt lgkmcnt(0)
	v_add_f16_e32 v0, v0, v1
	ds_write_b16 v5, v0
.LBB34_33:
	s_or_b64 exec, exec, s[2:3]
	s_waitcnt lgkmcnt(0)
	s_barrier
	s_and_b64 exec, exec, vcc
	s_cbranch_execz .LBB34_35
; %bb.34:
	v_lshlrev_b64 v[0:1], 1, v[2:3]
	v_mov_b32_e32 v2, s1
	v_add_co_u32_e32 v0, vcc, s0, v0
	v_addc_co_u32_e32 v1, vcc, v2, v1, vcc
	global_load_ushort v2, v[0:1], off
	ds_read_u16 v3, v4
	s_waitcnt lgkmcnt(0)
	v_mul_f16_e32 v3, v10, v3
	s_waitcnt vmcnt(0)
	v_fma_f16 v2, v11, v2, v3
	global_store_short v[0:1], v2, off
.LBB34_35:
	s_endpgm
	.section	.rodata,"a",@progbits
	.p2align	6, 0x0
	.amdhsa_kernel _ZN9rocsparseL16sddmm_ell_kernelILi512ELi2EDF16_llDF16_DF16_DF16_EEv20rocsparse_operation_S1_16rocsparse_order_S2_T3_S3_S3_T2_NS_24const_host_device_scalarIT1_EEPKT4_lPKT5_lS7_PT6_PKS3_21rocsparse_index_base_b
		.amdhsa_group_segment_fixed_size 1024
		.amdhsa_private_segment_fixed_size 0
		.amdhsa_kernarg_size 120
		.amdhsa_user_sgpr_count 6
		.amdhsa_user_sgpr_private_segment_buffer 1
		.amdhsa_user_sgpr_dispatch_ptr 0
		.amdhsa_user_sgpr_queue_ptr 0
		.amdhsa_user_sgpr_kernarg_segment_ptr 1
		.amdhsa_user_sgpr_dispatch_id 0
		.amdhsa_user_sgpr_flat_scratch_init 0
		.amdhsa_user_sgpr_kernarg_preload_length 0
		.amdhsa_user_sgpr_kernarg_preload_offset 0
		.amdhsa_user_sgpr_private_segment_size 0
		.amdhsa_uses_dynamic_stack 0
		.amdhsa_system_sgpr_private_segment_wavefront_offset 0
		.amdhsa_system_sgpr_workgroup_id_x 1
		.amdhsa_system_sgpr_workgroup_id_y 0
		.amdhsa_system_sgpr_workgroup_id_z 0
		.amdhsa_system_sgpr_workgroup_info 0
		.amdhsa_system_vgpr_workitem_id 0
		.amdhsa_next_free_vgpr 17
		.amdhsa_next_free_sgpr 24
		.amdhsa_accum_offset 20
		.amdhsa_reserve_vcc 1
		.amdhsa_reserve_flat_scratch 0
		.amdhsa_float_round_mode_32 0
		.amdhsa_float_round_mode_16_64 0
		.amdhsa_float_denorm_mode_32 3
		.amdhsa_float_denorm_mode_16_64 3
		.amdhsa_dx10_clamp 1
		.amdhsa_ieee_mode 1
		.amdhsa_fp16_overflow 0
		.amdhsa_tg_split 0
		.amdhsa_exception_fp_ieee_invalid_op 0
		.amdhsa_exception_fp_denorm_src 0
		.amdhsa_exception_fp_ieee_div_zero 0
		.amdhsa_exception_fp_ieee_overflow 0
		.amdhsa_exception_fp_ieee_underflow 0
		.amdhsa_exception_fp_ieee_inexact 0
		.amdhsa_exception_int_div_zero 0
	.end_amdhsa_kernel
	.section	.text._ZN9rocsparseL16sddmm_ell_kernelILi512ELi2EDF16_llDF16_DF16_DF16_EEv20rocsparse_operation_S1_16rocsparse_order_S2_T3_S3_S3_T2_NS_24const_host_device_scalarIT1_EEPKT4_lPKT5_lS7_PT6_PKS3_21rocsparse_index_base_b,"axG",@progbits,_ZN9rocsparseL16sddmm_ell_kernelILi512ELi2EDF16_llDF16_DF16_DF16_EEv20rocsparse_operation_S1_16rocsparse_order_S2_T3_S3_S3_T2_NS_24const_host_device_scalarIT1_EEPKT4_lPKT5_lS7_PT6_PKS3_21rocsparse_index_base_b,comdat
.Lfunc_end34:
	.size	_ZN9rocsparseL16sddmm_ell_kernelILi512ELi2EDF16_llDF16_DF16_DF16_EEv20rocsparse_operation_S1_16rocsparse_order_S2_T3_S3_S3_T2_NS_24const_host_device_scalarIT1_EEPKT4_lPKT5_lS7_PT6_PKS3_21rocsparse_index_base_b, .Lfunc_end34-_ZN9rocsparseL16sddmm_ell_kernelILi512ELi2EDF16_llDF16_DF16_DF16_EEv20rocsparse_operation_S1_16rocsparse_order_S2_T3_S3_S3_T2_NS_24const_host_device_scalarIT1_EEPKT4_lPKT5_lS7_PT6_PKS3_21rocsparse_index_base_b
                                        ; -- End function
	.section	.AMDGPU.csdata,"",@progbits
; Kernel info:
; codeLenInByte = 1756
; NumSgprs: 28
; NumVgprs: 17
; NumAgprs: 0
; TotalNumVgprs: 17
; ScratchSize: 0
; MemoryBound: 0
; FloatMode: 240
; IeeeMode: 1
; LDSByteSize: 1024 bytes/workgroup (compile time only)
; SGPRBlocks: 3
; VGPRBlocks: 2
; NumSGPRsForWavesPerEU: 28
; NumVGPRsForWavesPerEU: 17
; AccumOffset: 20
; Occupancy: 8
; WaveLimiterHint : 0
; COMPUTE_PGM_RSRC2:SCRATCH_EN: 0
; COMPUTE_PGM_RSRC2:USER_SGPR: 6
; COMPUTE_PGM_RSRC2:TRAP_HANDLER: 0
; COMPUTE_PGM_RSRC2:TGID_X_EN: 1
; COMPUTE_PGM_RSRC2:TGID_Y_EN: 0
; COMPUTE_PGM_RSRC2:TGID_Z_EN: 0
; COMPUTE_PGM_RSRC2:TIDIG_COMP_CNT: 0
; COMPUTE_PGM_RSRC3_GFX90A:ACCUM_OFFSET: 4
; COMPUTE_PGM_RSRC3_GFX90A:TG_SPLIT: 0
	.section	.text._ZN9rocsparseL16sddmm_ell_kernelILi512ELi1EDF16_llDF16_DF16_DF16_EEv20rocsparse_operation_S1_16rocsparse_order_S2_T3_S3_S3_T2_NS_24const_host_device_scalarIT1_EEPKT4_lPKT5_lS7_PT6_PKS3_21rocsparse_index_base_b,"axG",@progbits,_ZN9rocsparseL16sddmm_ell_kernelILi512ELi1EDF16_llDF16_DF16_DF16_EEv20rocsparse_operation_S1_16rocsparse_order_S2_T3_S3_S3_T2_NS_24const_host_device_scalarIT1_EEPKT4_lPKT5_lS7_PT6_PKS3_21rocsparse_index_base_b,comdat
	.globl	_ZN9rocsparseL16sddmm_ell_kernelILi512ELi1EDF16_llDF16_DF16_DF16_EEv20rocsparse_operation_S1_16rocsparse_order_S2_T3_S3_S3_T2_NS_24const_host_device_scalarIT1_EEPKT4_lPKT5_lS7_PT6_PKS3_21rocsparse_index_base_b ; -- Begin function _ZN9rocsparseL16sddmm_ell_kernelILi512ELi1EDF16_llDF16_DF16_DF16_EEv20rocsparse_operation_S1_16rocsparse_order_S2_T3_S3_S3_T2_NS_24const_host_device_scalarIT1_EEPKT4_lPKT5_lS7_PT6_PKS3_21rocsparse_index_base_b
	.p2align	8
	.type	_ZN9rocsparseL16sddmm_ell_kernelILi512ELi1EDF16_llDF16_DF16_DF16_EEv20rocsparse_operation_S1_16rocsparse_order_S2_T3_S3_S3_T2_NS_24const_host_device_scalarIT1_EEPKT4_lPKT5_lS7_PT6_PKS3_21rocsparse_index_base_b,@function
_ZN9rocsparseL16sddmm_ell_kernelILi512ELi1EDF16_llDF16_DF16_DF16_EEv20rocsparse_operation_S1_16rocsparse_order_S2_T3_S3_S3_T2_NS_24const_host_device_scalarIT1_EEPKT4_lPKT5_lS7_PT6_PKS3_21rocsparse_index_base_b: ; @_ZN9rocsparseL16sddmm_ell_kernelILi512ELi1EDF16_llDF16_DF16_DF16_EEv20rocsparse_operation_S1_16rocsparse_order_S2_T3_S3_S3_T2_NS_24const_host_device_scalarIT1_EEPKT4_lPKT5_lS7_PT6_PKS3_21rocsparse_index_base_b
; %bb.0:
	s_load_dwordx2 s[16:17], s[4:5], 0x70
	s_load_dwordx2 s[2:3], s[4:5], 0x30
	s_load_dwordx4 s[8:11], s[4:5], 0x50
	s_waitcnt lgkmcnt(0)
	s_bitcmp1_b32 s17, 0
	s_cselect_b64 s[12:13], -1, 0
	s_xor_b64 s[0:1], s[12:13], -1
	s_and_b64 vcc, exec, s[12:13]
	v_mov_b32_e32 v1, s2
	s_cbranch_vccnz .LBB35_2
; %bb.1:
	v_mov_b32_e32 v1, 0
	global_load_ushort v1, v1, s[2:3]
.LBB35_2:
	s_andn2_b64 vcc, exec, s[0:1]
	v_mov_b32_e32 v10, s10
	s_cbranch_vccnz .LBB35_4
; %bb.3:
	v_mov_b32_e32 v2, 0
	global_load_ushort v10, v2, s[10:11]
.LBB35_4:
	s_waitcnt vmcnt(0)
	v_cmp_eq_f16_e32 vcc, 0, v1
	v_cmp_eq_f16_e64 s[0:1], 1.0, v10
	s_and_b64 s[0:1], vcc, s[0:1]
	s_and_b64 vcc, exec, s[0:1]
	s_cbranch_vccnz .LBB35_32
; %bb.5:
	s_load_dwordx4 s[12:15], s[4:5], 0x20
	v_lshl_or_b32 v2, s6, 9, v0
	v_mov_b32_e32 v3, 0
	s_waitcnt lgkmcnt(0)
	v_cmp_gt_i64_e32 vcc, s[14:15], v[2:3]
	s_and_saveexec_b64 s[0:1], vcc
	s_cbranch_execz .LBB35_32
; %bb.6:
	s_load_dwordx2 s[10:11], s[4:5], 0x10
	s_load_dwordx2 s[6:7], s[4:5], 0x68
	s_mov_b32 s0, 0
                                        ; implicit-def: $vgpr8_vgpr9
	s_waitcnt lgkmcnt(0)
	s_mov_b32 s1, s11
	s_cmp_lg_u64 s[0:1], 0
	s_cselect_b64 s[0:1], -1, 0
	s_and_saveexec_b64 s[2:3], s[0:1]
	s_xor_b64 s[14:15], exec, s[2:3]
	s_cbranch_execz .LBB35_8
; %bb.7:
	s_ashr_i32 s0, s11, 31
	s_add_u32 s2, s10, s0
	s_mov_b32 s1, s0
	s_addc_u32 s3, s11, s0
	s_xor_b64 s[18:19], s[2:3], s[0:1]
	v_cvt_f32_u32_e32 v4, s18
	v_cvt_f32_u32_e32 v5, s19
	s_sub_u32 s0, 0, s18
	s_subb_u32 s1, 0, s19
	v_madmk_f32 v4, v5, 0x4f800000, v4
	v_rcp_f32_e32 v4, v4
	v_mul_f32_e32 v4, 0x5f7ffffc, v4
	v_mul_f32_e32 v5, 0x2f800000, v4
	v_trunc_f32_e32 v5, v5
	v_madmk_f32 v4, v5, 0xcf800000, v4
	v_cvt_u32_f32_e32 v5, v5
	v_cvt_u32_f32_e32 v4, v4
	v_mul_lo_u32 v6, s0, v5
	v_mul_hi_u32 v8, s0, v4
	v_mul_lo_u32 v7, s1, v4
	v_add_u32_e32 v6, v8, v6
	v_mul_lo_u32 v9, s0, v4
	v_add_u32_e32 v6, v6, v7
	v_mul_lo_u32 v8, v4, v6
	v_mul_hi_u32 v11, v4, v9
	v_mul_hi_u32 v7, v4, v6
	v_add_co_u32_e32 v8, vcc, v11, v8
	v_addc_co_u32_e32 v7, vcc, 0, v7, vcc
	v_mul_hi_u32 v12, v5, v9
	v_mul_lo_u32 v9, v5, v9
	v_add_co_u32_e32 v8, vcc, v8, v9
	v_mul_hi_u32 v11, v5, v6
	v_addc_co_u32_e32 v7, vcc, v7, v12, vcc
	v_addc_co_u32_e32 v8, vcc, 0, v11, vcc
	v_mul_lo_u32 v6, v5, v6
	v_add_co_u32_e32 v6, vcc, v7, v6
	v_addc_co_u32_e32 v7, vcc, 0, v8, vcc
	v_add_co_u32_e32 v4, vcc, v4, v6
	v_addc_co_u32_e32 v5, vcc, v5, v7, vcc
	v_mul_lo_u32 v6, s0, v5
	v_mul_hi_u32 v7, s0, v4
	v_add_u32_e32 v6, v7, v6
	v_mul_lo_u32 v7, s1, v4
	v_add_u32_e32 v6, v6, v7
	v_mul_lo_u32 v8, s0, v4
	v_mul_hi_u32 v9, v5, v8
	v_mul_lo_u32 v11, v5, v8
	v_mul_lo_u32 v13, v4, v6
	v_mul_hi_u32 v8, v4, v8
	v_mul_hi_u32 v12, v4, v6
	v_add_co_u32_e32 v8, vcc, v8, v13
	v_addc_co_u32_e32 v12, vcc, 0, v12, vcc
	v_add_co_u32_e32 v8, vcc, v8, v11
	v_mul_hi_u32 v7, v5, v6
	v_addc_co_u32_e32 v8, vcc, v12, v9, vcc
	v_addc_co_u32_e32 v7, vcc, 0, v7, vcc
	v_mul_lo_u32 v6, v5, v6
	v_add_co_u32_e32 v6, vcc, v8, v6
	v_addc_co_u32_e32 v7, vcc, 0, v7, vcc
	v_add_co_u32_e32 v6, vcc, v4, v6
	v_addc_co_u32_e32 v7, vcc, v5, v7, vcc
	v_mad_u64_u32 v[4:5], s[0:1], v2, v7, 0
	v_mul_hi_u32 v8, v2, v6
	v_add_co_u32_e32 v8, vcc, v8, v4
	v_addc_co_u32_e32 v9, vcc, 0, v5, vcc
	v_mad_u64_u32 v[4:5], s[0:1], 0, v7, 0
	v_mad_u64_u32 v[6:7], s[0:1], 0, v6, 0
	v_add_co_u32_e32 v6, vcc, v8, v6
	v_addc_co_u32_e32 v6, vcc, v9, v7, vcc
	v_addc_co_u32_e32 v5, vcc, 0, v5, vcc
	v_add_co_u32_e32 v4, vcc, v6, v4
	v_addc_co_u32_e32 v5, vcc, 0, v5, vcc
	v_mul_lo_u32 v6, s19, v4
	v_mul_lo_u32 v7, s18, v5
	v_mad_u64_u32 v[4:5], s[0:1], s18, v4, 0
	v_add3_u32 v5, v5, v7, v6
	v_sub_u32_e32 v6, 0, v5
	v_mov_b32_e32 v7, s19
	v_sub_co_u32_e32 v4, vcc, v2, v4
	v_subb_co_u32_e64 v6, s[0:1], v6, v7, vcc
	v_subrev_co_u32_e64 v8, s[0:1], s18, v4
	v_subbrev_co_u32_e64 v9, s[2:3], 0, v6, s[0:1]
	v_cmp_le_u32_e64 s[2:3], s19, v9
	v_cndmask_b32_e64 v11, 0, -1, s[2:3]
	v_cmp_le_u32_e64 s[2:3], s18, v8
	v_subb_co_u32_e64 v6, s[0:1], v6, v7, s[0:1]
	v_cndmask_b32_e64 v12, 0, -1, s[2:3]
	v_cmp_eq_u32_e64 s[2:3], s19, v9
	v_subrev_co_u32_e64 v7, s[0:1], s18, v8
	v_cndmask_b32_e64 v11, v11, v12, s[2:3]
	v_subbrev_co_u32_e64 v6, s[0:1], 0, v6, s[0:1]
	v_subb_co_u32_e32 v5, vcc, 0, v5, vcc
	v_cmp_ne_u32_e64 s[0:1], 0, v11
	v_cmp_le_u32_e32 vcc, s19, v5
	v_cndmask_b32_e64 v6, v9, v6, s[0:1]
	v_cndmask_b32_e64 v9, 0, -1, vcc
	v_cmp_le_u32_e32 vcc, s18, v4
	v_cndmask_b32_e64 v11, 0, -1, vcc
	v_cmp_eq_u32_e32 vcc, s19, v5
	v_cndmask_b32_e32 v9, v9, v11, vcc
	v_cmp_ne_u32_e32 vcc, 0, v9
	v_cndmask_b32_e32 v5, v5, v6, vcc
	v_cndmask_b32_e64 v6, v8, v7, s[0:1]
	v_cndmask_b32_e32 v4, v4, v6, vcc
	v_subrev_co_u32_e32 v8, vcc, 0, v4
	v_subbrev_co_u32_e32 v9, vcc, 0, v5, vcc
.LBB35_8:
	s_andn2_saveexec_b64 s[0:1], s[14:15]
	s_cbranch_execz .LBB35_10
; %bb.9:
	v_cvt_f32_u32_e32 v4, s10
	s_sub_i32 s2, 0, s10
	v_mov_b32_e32 v9, 0
	v_rcp_iflag_f32_e32 v4, v4
	v_mul_f32_e32 v4, 0x4f7ffffe, v4
	v_cvt_u32_f32_e32 v4, v4
	v_mul_lo_u32 v5, s2, v4
	v_mul_hi_u32 v5, v4, v5
	v_add_u32_e32 v4, v4, v5
	v_mul_hi_u32 v4, v2, v4
	v_mul_lo_u32 v4, v4, s10
	v_sub_u32_e32 v4, v2, v4
	v_subrev_u32_e32 v5, s10, v4
	v_cmp_le_u32_e32 vcc, s10, v4
	v_cndmask_b32_e32 v4, v4, v5, vcc
	v_subrev_u32_e32 v5, s10, v4
	v_cmp_le_u32_e32 vcc, s10, v4
	v_cndmask_b32_e32 v8, v4, v5, vcc
.LBB35_10:
	s_or_b64 exec, exec, s[0:1]
	v_lshlrev_b64 v[4:5], 3, v[2:3]
	v_mov_b32_e32 v6, s7
	v_add_co_u32_e32 v4, vcc, s6, v4
	v_addc_co_u32_e32 v5, vcc, v6, v5, vcc
	global_load_dwordx2 v[4:5], v[4:5], off
	s_mov_b64 s[18:19], -1
	s_waitcnt vmcnt(0)
	v_subrev_co_u32_e32 v4, vcc, s16, v4
	v_subbrev_co_u32_e32 v5, vcc, 0, v5, vcc
	v_cmp_lt_i64_e32 vcc, -1, v[4:5]
	s_and_b64 exec, exec, vcc
	s_cbranch_execz .LBB35_32
; %bb.11:
	s_load_dwordx4 s[0:3], s[4:5], 0x0
	s_load_dwordx2 s[6:7], s[4:5], 0x40
	s_waitcnt lgkmcnt(0)
	s_cmp_eq_u32 s2, 1
	s_cselect_b64 s[10:11], -1, 0
	s_cmpk_eq_i32 s0, 0x6f
	s_cselect_b64 s[14:15], -1, 0
	s_cmpk_lg_i32 s0, 0x6f
	s_cselect_b64 s[16:17], -1, 0
	s_cmp_lg_u32 s2, 1
	s_cbranch_scc0 .LBB35_15
; %bb.12:
	s_andn2_b64 vcc, exec, s[14:15]
	v_pk_mov_b32 v[6:7], v[8:9], v[8:9] op_sel:[0,1]
	s_cbranch_vccnz .LBB35_14
; %bb.13:
	v_mul_lo_u32 v11, v9, s6
	v_mul_lo_u32 v12, v8, s7
	v_mad_u64_u32 v[6:7], s[18:19], v8, s6, 0
	v_add3_u32 v7, v7, v12, v11
.LBB35_14:
	s_cbranch_execz .LBB35_16
	s_branch .LBB35_19
.LBB35_15:
                                        ; implicit-def: $vgpr6_vgpr7
	s_andn2_b64 vcc, exec, s[18:19]
	s_cbranch_vccnz .LBB35_19
.LBB35_16:
	s_andn2_b64 vcc, exec, s[16:17]
	s_cbranch_vccnz .LBB35_18
; %bb.17:
	v_mul_lo_u32 v6, v9, s6
	v_mul_lo_u32 v7, v8, s7
	v_mad_u64_u32 v[8:9], s[16:17], v8, s6, 0
	v_add3_u32 v9, v9, v7, v6
.LBB35_18:
	v_pk_mov_b32 v[6:7], v[8:9], v[8:9] op_sel:[0,1]
.LBB35_19:
	s_cmp_eq_u32 s3, 1
	s_cselect_b64 s[16:17], -1, 0
	s_cmpk_eq_i32 s1, 0x6f
	s_cselect_b64 s[18:19], -1, 0
	s_cmpk_lg_i32 s1, 0x6f
	s_cselect_b64 s[0:1], -1, 0
	s_cmp_lg_u32 s3, 1
	s_cbranch_scc0 .LBB35_23
; %bb.20:
	s_andn2_b64 vcc, exec, s[0:1]
	v_pk_mov_b32 v[8:9], v[4:5], v[4:5] op_sel:[0,1]
	s_cbranch_vccnz .LBB35_22
; %bb.21:
	v_mul_lo_u32 v11, v5, s8
	v_mul_lo_u32 v12, v4, s9
	v_mad_u64_u32 v[8:9], s[0:1], v4, s8, 0
	v_add3_u32 v9, v9, v12, v11
.LBB35_22:
	s_cbranch_execz .LBB35_24
	s_branch .LBB35_27
.LBB35_23:
                                        ; implicit-def: $vgpr8_vgpr9
.LBB35_24:
	s_andn2_b64 vcc, exec, s[18:19]
	s_cbranch_vccnz .LBB35_26
; %bb.25:
	v_mul_lo_u32 v8, v5, s8
	v_mul_lo_u32 v9, v4, s9
	v_mad_u64_u32 v[4:5], s[0:1], v4, s8, 0
	v_add3_u32 v5, v5, v9, v8
.LBB35_26:
	v_pk_mov_b32 v[8:9], v[4:5], v[4:5] op_sel:[0,1]
.LBB35_27:
	s_load_dwordx2 s[0:1], s[4:5], 0x60
	v_cmp_lt_i64_e64 s[2:3], s[12:13], 1
	s_and_b64 vcc, exec, s[2:3]
	s_cbranch_vccnz .LBB35_30
; %bb.28:
	s_load_dwordx2 s[2:3], s[4:5], 0x48
	s_load_dwordx2 s[20:21], s[4:5], 0x38
	v_lshlrev_b64 v[4:5], 1, v[8:9]
	v_lshlrev_b64 v[6:7], 1, v[6:7]
	s_waitcnt lgkmcnt(0)
	v_mov_b32_e32 v8, s3
	v_add_co_u32_e32 v4, vcc, s2, v4
	s_xor_b64 s[2:3], s[14:15], s[10:11]
	s_and_b64 s[2:3], s[2:3], exec
	s_cselect_b32 s5, 0, s7
	s_cselect_b32 s4, 1, s6
	s_xor_b64 s[2:3], s[18:19], s[16:17]
	s_and_b64 s[2:3], s[2:3], exec
	v_addc_co_u32_e32 v5, vcc, v8, v5, vcc
	s_cselect_b32 s3, s9, 0
	s_cselect_b32 s2, s8, 1
	v_mov_b32_e32 v8, s21
	v_add_co_u32_e32 v6, vcc, s20, v6
	s_lshl_b64 s[2:3], s[2:3], 1
	s_lshl_b64 s[4:5], s[4:5], 1
	v_addc_co_u32_e32 v7, vcc, v8, v7, vcc
	v_mov_b32_e32 v8, 0
	v_mov_b32_e32 v9, s3
	;; [unrolled: 1-line block ×3, first 2 shown]
.LBB35_29:                              ; =>This Inner Loop Header: Depth=1
	global_load_ushort v12, v[6:7], off
	global_load_ushort v13, v[4:5], off
	v_add_co_u32_e32 v4, vcc, s2, v4
	s_add_u32 s12, s12, -1
	v_addc_co_u32_e32 v5, vcc, v5, v9, vcc
	v_add_co_u32_e32 v6, vcc, s4, v6
	s_addc_u32 s13, s13, -1
	v_addc_co_u32_e32 v7, vcc, v7, v11, vcc
	s_cmp_eq_u64 s[12:13], 0
	s_waitcnt vmcnt(0)
	v_fma_f16 v8, v12, v13, v8
	s_cbranch_scc0 .LBB35_29
	s_branch .LBB35_31
.LBB35_30:
	v_mov_b32_e32 v8, 0
.LBB35_31:
	v_lshlrev_b64 v[2:3], 1, v[2:3]
	s_waitcnt lgkmcnt(0)
	v_mov_b32_e32 v4, s1
	v_add_co_u32_e32 v2, vcc, s0, v2
	v_lshlrev_b32_e32 v0, 1, v0
	v_addc_co_u32_e32 v3, vcc, v4, v3, vcc
	ds_write_b16 v0, v8
	s_waitcnt lgkmcnt(0)
	s_barrier
	global_load_ushort v4, v[2:3], off
	ds_read_u16 v0, v0
	s_waitcnt lgkmcnt(0)
	v_mul_f16_e32 v0, v1, v0
	s_waitcnt vmcnt(0)
	v_fma_f16 v0, v10, v4, v0
	global_store_short v[2:3], v0, off
.LBB35_32:
	s_endpgm
	.section	.rodata,"a",@progbits
	.p2align	6, 0x0
	.amdhsa_kernel _ZN9rocsparseL16sddmm_ell_kernelILi512ELi1EDF16_llDF16_DF16_DF16_EEv20rocsparse_operation_S1_16rocsparse_order_S2_T3_S3_S3_T2_NS_24const_host_device_scalarIT1_EEPKT4_lPKT5_lS7_PT6_PKS3_21rocsparse_index_base_b
		.amdhsa_group_segment_fixed_size 1024
		.amdhsa_private_segment_fixed_size 0
		.amdhsa_kernarg_size 120
		.amdhsa_user_sgpr_count 6
		.amdhsa_user_sgpr_private_segment_buffer 1
		.amdhsa_user_sgpr_dispatch_ptr 0
		.amdhsa_user_sgpr_queue_ptr 0
		.amdhsa_user_sgpr_kernarg_segment_ptr 1
		.amdhsa_user_sgpr_dispatch_id 0
		.amdhsa_user_sgpr_flat_scratch_init 0
		.amdhsa_user_sgpr_kernarg_preload_length 0
		.amdhsa_user_sgpr_kernarg_preload_offset 0
		.amdhsa_user_sgpr_private_segment_size 0
		.amdhsa_uses_dynamic_stack 0
		.amdhsa_system_sgpr_private_segment_wavefront_offset 0
		.amdhsa_system_sgpr_workgroup_id_x 1
		.amdhsa_system_sgpr_workgroup_id_y 0
		.amdhsa_system_sgpr_workgroup_id_z 0
		.amdhsa_system_sgpr_workgroup_info 0
		.amdhsa_system_vgpr_workitem_id 0
		.amdhsa_next_free_vgpr 14
		.amdhsa_next_free_sgpr 22
		.amdhsa_accum_offset 16
		.amdhsa_reserve_vcc 1
		.amdhsa_reserve_flat_scratch 0
		.amdhsa_float_round_mode_32 0
		.amdhsa_float_round_mode_16_64 0
		.amdhsa_float_denorm_mode_32 3
		.amdhsa_float_denorm_mode_16_64 3
		.amdhsa_dx10_clamp 1
		.amdhsa_ieee_mode 1
		.amdhsa_fp16_overflow 0
		.amdhsa_tg_split 0
		.amdhsa_exception_fp_ieee_invalid_op 0
		.amdhsa_exception_fp_denorm_src 0
		.amdhsa_exception_fp_ieee_div_zero 0
		.amdhsa_exception_fp_ieee_overflow 0
		.amdhsa_exception_fp_ieee_underflow 0
		.amdhsa_exception_fp_ieee_inexact 0
		.amdhsa_exception_int_div_zero 0
	.end_amdhsa_kernel
	.section	.text._ZN9rocsparseL16sddmm_ell_kernelILi512ELi1EDF16_llDF16_DF16_DF16_EEv20rocsparse_operation_S1_16rocsparse_order_S2_T3_S3_S3_T2_NS_24const_host_device_scalarIT1_EEPKT4_lPKT5_lS7_PT6_PKS3_21rocsparse_index_base_b,"axG",@progbits,_ZN9rocsparseL16sddmm_ell_kernelILi512ELi1EDF16_llDF16_DF16_DF16_EEv20rocsparse_operation_S1_16rocsparse_order_S2_T3_S3_S3_T2_NS_24const_host_device_scalarIT1_EEPKT4_lPKT5_lS7_PT6_PKS3_21rocsparse_index_base_b,comdat
.Lfunc_end35:
	.size	_ZN9rocsparseL16sddmm_ell_kernelILi512ELi1EDF16_llDF16_DF16_DF16_EEv20rocsparse_operation_S1_16rocsparse_order_S2_T3_S3_S3_T2_NS_24const_host_device_scalarIT1_EEPKT4_lPKT5_lS7_PT6_PKS3_21rocsparse_index_base_b, .Lfunc_end35-_ZN9rocsparseL16sddmm_ell_kernelILi512ELi1EDF16_llDF16_DF16_DF16_EEv20rocsparse_operation_S1_16rocsparse_order_S2_T3_S3_S3_T2_NS_24const_host_device_scalarIT1_EEPKT4_lPKT5_lS7_PT6_PKS3_21rocsparse_index_base_b
                                        ; -- End function
	.section	.AMDGPU.csdata,"",@progbits
; Kernel info:
; codeLenInByte = 1592
; NumSgprs: 26
; NumVgprs: 14
; NumAgprs: 0
; TotalNumVgprs: 14
; ScratchSize: 0
; MemoryBound: 0
; FloatMode: 240
; IeeeMode: 1
; LDSByteSize: 1024 bytes/workgroup (compile time only)
; SGPRBlocks: 3
; VGPRBlocks: 1
; NumSGPRsForWavesPerEU: 26
; NumVGPRsForWavesPerEU: 14
; AccumOffset: 16
; Occupancy: 8
; WaveLimiterHint : 0
; COMPUTE_PGM_RSRC2:SCRATCH_EN: 0
; COMPUTE_PGM_RSRC2:USER_SGPR: 6
; COMPUTE_PGM_RSRC2:TRAP_HANDLER: 0
; COMPUTE_PGM_RSRC2:TGID_X_EN: 1
; COMPUTE_PGM_RSRC2:TGID_Y_EN: 0
; COMPUTE_PGM_RSRC2:TGID_Z_EN: 0
; COMPUTE_PGM_RSRC2:TIDIG_COMP_CNT: 0
; COMPUTE_PGM_RSRC3_GFX90A:ACCUM_OFFSET: 3
; COMPUTE_PGM_RSRC3_GFX90A:TG_SPLIT: 0
	.section	.text._ZN9rocsparseL23sddmm_ell_sample_kernelILi16ELi32EflfEEvT2_S1_PKT3_lS1_PS2_PKS1_21rocsparse_index_base_,"axG",@progbits,_ZN9rocsparseL23sddmm_ell_sample_kernelILi16ELi32EflfEEvT2_S1_PKT3_lS1_PS2_PKS1_21rocsparse_index_base_,comdat
	.globl	_ZN9rocsparseL23sddmm_ell_sample_kernelILi16ELi32EflfEEvT2_S1_PKT3_lS1_PS2_PKS1_21rocsparse_index_base_ ; -- Begin function _ZN9rocsparseL23sddmm_ell_sample_kernelILi16ELi32EflfEEvT2_S1_PKT3_lS1_PS2_PKS1_21rocsparse_index_base_
	.p2align	8
	.type	_ZN9rocsparseL23sddmm_ell_sample_kernelILi16ELi32EflfEEvT2_S1_PKT3_lS1_PS2_PKS1_21rocsparse_index_base_,@function
_ZN9rocsparseL23sddmm_ell_sample_kernelILi16ELi32EflfEEvT2_S1_PKT3_lS1_PS2_PKS1_21rocsparse_index_base_: ; @_ZN9rocsparseL23sddmm_ell_sample_kernelILi16ELi32EflfEEvT2_S1_PKT3_lS1_PS2_PKS1_21rocsparse_index_base_
; %bb.0:
	s_load_dwordx4 s[0:3], s[4:5], 0x18
	v_lshrrev_b32_e32 v1, 5, v0
	v_lshl_or_b32 v2, s6, 4, v1
	v_mov_b32_e32 v1, 0
	v_mov_b32_e32 v3, v1
	s_waitcnt lgkmcnt(0)
	v_cmp_gt_i64_e32 vcc, s[2:3], v[2:3]
	s_and_saveexec_b64 s[2:3], vcc
	s_cbranch_execz .LBB36_6
; %bb.1:
	s_load_dwordx4 s[8:11], s[4:5], 0x0
	v_and_b32_e32 v0, 31, v0
	s_waitcnt lgkmcnt(0)
	v_cmp_gt_i64_e32 vcc, s[8:9], v[0:1]
	s_and_b64 exec, exec, vcc
	s_cbranch_execz .LBB36_6
; %bb.2:
	v_mad_u64_u32 v[4:5], s[2:3], v2, s8, v[0:1]
	s_load_dwordx2 s[16:17], s[4:5], 0x10
	s_load_dwordx4 s[12:15], s[4:5], 0x28
	s_load_dword s6, s[4:5], 0x38
	v_mov_b32_e32 v6, v5
	v_mad_u64_u32 v[2:3], s[2:3], v2, s9, v[6:7]
	v_mov_b32_e32 v5, v2
	v_lshlrev_b64 v[2:3], 3, v[4:5]
	s_waitcnt lgkmcnt(0)
	v_mov_b32_e32 v6, s15
	v_add_co_u32_e32 v2, vcc, s14, v2
	v_addc_co_u32_e32 v3, vcc, v6, v3, vcc
	v_lshlrev_b64 v[4:5], 2, v[4:5]
	v_mov_b32_e32 v6, s13
	v_add_co_u32_e32 v4, vcc, s12, v4
	v_addc_co_u32_e32 v5, vcc, v6, v5, vcc
	v_lshlrev_b32_e32 v6, 2, v0
	s_mov_b32 s7, 0
	v_mov_b32_e32 v7, s17
	v_add_co_u32_e32 v6, vcc, s16, v6
	s_lshl_b64 s[2:3], s[0:1], 2
	v_addc_co_u32_e32 v7, vcc, 0, v7, vcc
	s_mov_b64 s[4:5], 0
	v_mov_b32_e32 v10, s7
	s_branch .LBB36_4
.LBB36_3:                               ;   in Loop: Header=BB36_4 Depth=1
	s_or_b64 exec, exec, s[0:1]
	v_add_co_u32_e32 v0, vcc, 32, v0
	v_addc_co_u32_e32 v1, vcc, 0, v1, vcc
	v_add_co_u32_e32 v2, vcc, 0x100, v2
	v_addc_co_u32_e32 v3, vcc, 0, v3, vcc
	;; [unrolled: 2-line block ×3, first 2 shown]
	v_add_co_u32_e32 v6, vcc, 0x80, v6
	v_cmp_le_i64_e64 s[0:1], s[8:9], v[0:1]
	s_or_b64 s[4:5], s[0:1], s[4:5]
	v_addc_co_u32_e32 v7, vcc, 0, v7, vcc
	s_andn2_b64 exec, exec, s[4:5]
	s_cbranch_execz .LBB36_6
.LBB36_4:                               ; =>This Inner Loop Header: Depth=1
	global_load_dwordx2 v[8:9], v[2:3], off
	s_waitcnt vmcnt(0)
	v_subrev_co_u32_e32 v8, vcc, s6, v8
	v_subb_co_u32_e32 v9, vcc, v9, v10, vcc
	v_cmp_lt_i64_e32 vcc, -1, v[8:9]
	v_cmp_gt_i64_e64 s[0:1], s[10:11], v[8:9]
	s_and_b64 s[12:13], vcc, s[0:1]
	s_and_saveexec_b64 s[0:1], s[12:13]
	s_cbranch_execz .LBB36_3
; %bb.5:                                ;   in Loop: Header=BB36_4 Depth=1
	v_mad_u64_u32 v[12:13], s[12:13], s2, v8, v[6:7]
	v_mul_lo_u32 v9, s2, v9
	v_mul_lo_u32 v8, s3, v8
	v_add3_u32 v13, v8, v13, v9
	global_load_dword v8, v[12:13], off
	s_waitcnt vmcnt(0)
	global_store_dword v[4:5], v8, off
	s_branch .LBB36_3
.LBB36_6:
	s_endpgm
	.section	.rodata,"a",@progbits
	.p2align	6, 0x0
	.amdhsa_kernel _ZN9rocsparseL23sddmm_ell_sample_kernelILi16ELi32EflfEEvT2_S1_PKT3_lS1_PS2_PKS1_21rocsparse_index_base_
		.amdhsa_group_segment_fixed_size 0
		.amdhsa_private_segment_fixed_size 0
		.amdhsa_kernarg_size 60
		.amdhsa_user_sgpr_count 6
		.amdhsa_user_sgpr_private_segment_buffer 1
		.amdhsa_user_sgpr_dispatch_ptr 0
		.amdhsa_user_sgpr_queue_ptr 0
		.amdhsa_user_sgpr_kernarg_segment_ptr 1
		.amdhsa_user_sgpr_dispatch_id 0
		.amdhsa_user_sgpr_flat_scratch_init 0
		.amdhsa_user_sgpr_kernarg_preload_length 0
		.amdhsa_user_sgpr_kernarg_preload_offset 0
		.amdhsa_user_sgpr_private_segment_size 0
		.amdhsa_uses_dynamic_stack 0
		.amdhsa_system_sgpr_private_segment_wavefront_offset 0
		.amdhsa_system_sgpr_workgroup_id_x 1
		.amdhsa_system_sgpr_workgroup_id_y 0
		.amdhsa_system_sgpr_workgroup_id_z 0
		.amdhsa_system_sgpr_workgroup_info 0
		.amdhsa_system_vgpr_workitem_id 0
		.amdhsa_next_free_vgpr 14
		.amdhsa_next_free_sgpr 18
		.amdhsa_accum_offset 16
		.amdhsa_reserve_vcc 1
		.amdhsa_reserve_flat_scratch 0
		.amdhsa_float_round_mode_32 0
		.amdhsa_float_round_mode_16_64 0
		.amdhsa_float_denorm_mode_32 3
		.amdhsa_float_denorm_mode_16_64 3
		.amdhsa_dx10_clamp 1
		.amdhsa_ieee_mode 1
		.amdhsa_fp16_overflow 0
		.amdhsa_tg_split 0
		.amdhsa_exception_fp_ieee_invalid_op 0
		.amdhsa_exception_fp_denorm_src 0
		.amdhsa_exception_fp_ieee_div_zero 0
		.amdhsa_exception_fp_ieee_overflow 0
		.amdhsa_exception_fp_ieee_underflow 0
		.amdhsa_exception_fp_ieee_inexact 0
		.amdhsa_exception_int_div_zero 0
	.end_amdhsa_kernel
	.section	.text._ZN9rocsparseL23sddmm_ell_sample_kernelILi16ELi32EflfEEvT2_S1_PKT3_lS1_PS2_PKS1_21rocsparse_index_base_,"axG",@progbits,_ZN9rocsparseL23sddmm_ell_sample_kernelILi16ELi32EflfEEvT2_S1_PKT3_lS1_PS2_PKS1_21rocsparse_index_base_,comdat
.Lfunc_end36:
	.size	_ZN9rocsparseL23sddmm_ell_sample_kernelILi16ELi32EflfEEvT2_S1_PKT3_lS1_PS2_PKS1_21rocsparse_index_base_, .Lfunc_end36-_ZN9rocsparseL23sddmm_ell_sample_kernelILi16ELi32EflfEEvT2_S1_PKT3_lS1_PS2_PKS1_21rocsparse_index_base_
                                        ; -- End function
	.section	.AMDGPU.csdata,"",@progbits
; Kernel info:
; codeLenInByte = 372
; NumSgprs: 22
; NumVgprs: 14
; NumAgprs: 0
; TotalNumVgprs: 14
; ScratchSize: 0
; MemoryBound: 0
; FloatMode: 240
; IeeeMode: 1
; LDSByteSize: 0 bytes/workgroup (compile time only)
; SGPRBlocks: 2
; VGPRBlocks: 1
; NumSGPRsForWavesPerEU: 22
; NumVGPRsForWavesPerEU: 14
; AccumOffset: 16
; Occupancy: 8
; WaveLimiterHint : 1
; COMPUTE_PGM_RSRC2:SCRATCH_EN: 0
; COMPUTE_PGM_RSRC2:USER_SGPR: 6
; COMPUTE_PGM_RSRC2:TRAP_HANDLER: 0
; COMPUTE_PGM_RSRC2:TGID_X_EN: 1
; COMPUTE_PGM_RSRC2:TGID_Y_EN: 0
; COMPUTE_PGM_RSRC2:TGID_Z_EN: 0
; COMPUTE_PGM_RSRC2:TIDIG_COMP_CNT: 0
; COMPUTE_PGM_RSRC3_GFX90A:ACCUM_OFFSET: 3
; COMPUTE_PGM_RSRC3_GFX90A:TG_SPLIT: 0
	.section	.text._ZN9rocsparseL23sddmm_ell_sample_kernelILi16ELi64EflfEEvT2_S1_PKT3_lS1_PS2_PKS1_21rocsparse_index_base_,"axG",@progbits,_ZN9rocsparseL23sddmm_ell_sample_kernelILi16ELi64EflfEEvT2_S1_PKT3_lS1_PS2_PKS1_21rocsparse_index_base_,comdat
	.globl	_ZN9rocsparseL23sddmm_ell_sample_kernelILi16ELi64EflfEEvT2_S1_PKT3_lS1_PS2_PKS1_21rocsparse_index_base_ ; -- Begin function _ZN9rocsparseL23sddmm_ell_sample_kernelILi16ELi64EflfEEvT2_S1_PKT3_lS1_PS2_PKS1_21rocsparse_index_base_
	.p2align	8
	.type	_ZN9rocsparseL23sddmm_ell_sample_kernelILi16ELi64EflfEEvT2_S1_PKT3_lS1_PS2_PKS1_21rocsparse_index_base_,@function
_ZN9rocsparseL23sddmm_ell_sample_kernelILi16ELi64EflfEEvT2_S1_PKT3_lS1_PS2_PKS1_21rocsparse_index_base_: ; @_ZN9rocsparseL23sddmm_ell_sample_kernelILi16ELi64EflfEEvT2_S1_PKT3_lS1_PS2_PKS1_21rocsparse_index_base_
; %bb.0:
	s_load_dwordx4 s[0:3], s[4:5], 0x18
	v_lshrrev_b32_e32 v1, 6, v0
	v_lshl_or_b32 v2, s6, 4, v1
	v_mov_b32_e32 v1, 0
	v_mov_b32_e32 v3, v1
	s_waitcnt lgkmcnt(0)
	v_cmp_gt_i64_e32 vcc, s[2:3], v[2:3]
	s_and_saveexec_b64 s[2:3], vcc
	s_cbranch_execz .LBB37_6
; %bb.1:
	s_load_dwordx4 s[8:11], s[4:5], 0x0
	v_and_b32_e32 v0, 63, v0
	s_waitcnt lgkmcnt(0)
	v_cmp_gt_i64_e32 vcc, s[8:9], v[0:1]
	s_and_b64 exec, exec, vcc
	s_cbranch_execz .LBB37_6
; %bb.2:
	v_mad_u64_u32 v[4:5], s[2:3], v2, s8, v[0:1]
	s_load_dwordx2 s[16:17], s[4:5], 0x10
	s_load_dwordx4 s[12:15], s[4:5], 0x28
	s_load_dword s6, s[4:5], 0x38
	v_mov_b32_e32 v6, v5
	v_mad_u64_u32 v[2:3], s[2:3], v2, s9, v[6:7]
	v_mov_b32_e32 v5, v2
	v_lshlrev_b64 v[2:3], 3, v[4:5]
	s_waitcnt lgkmcnt(0)
	v_mov_b32_e32 v6, s15
	v_add_co_u32_e32 v2, vcc, s14, v2
	v_addc_co_u32_e32 v3, vcc, v6, v3, vcc
	v_lshlrev_b64 v[4:5], 2, v[4:5]
	v_mov_b32_e32 v6, s13
	v_add_co_u32_e32 v4, vcc, s12, v4
	v_addc_co_u32_e32 v5, vcc, v6, v5, vcc
	v_lshlrev_b32_e32 v6, 2, v0
	s_mov_b32 s7, 0
	v_mov_b32_e32 v7, s17
	v_add_co_u32_e32 v6, vcc, s16, v6
	s_lshl_b64 s[2:3], s[0:1], 2
	v_addc_co_u32_e32 v7, vcc, 0, v7, vcc
	s_mov_b64 s[4:5], 0
	v_mov_b32_e32 v10, s7
	s_branch .LBB37_4
.LBB37_3:                               ;   in Loop: Header=BB37_4 Depth=1
	s_or_b64 exec, exec, s[0:1]
	v_add_co_u32_e32 v0, vcc, 64, v0
	v_addc_co_u32_e32 v1, vcc, 0, v1, vcc
	v_add_co_u32_e32 v2, vcc, 0x200, v2
	v_addc_co_u32_e32 v3, vcc, 0, v3, vcc
	;; [unrolled: 2-line block ×3, first 2 shown]
	v_add_co_u32_e32 v6, vcc, 0x100, v6
	v_cmp_le_i64_e64 s[0:1], s[8:9], v[0:1]
	s_or_b64 s[4:5], s[0:1], s[4:5]
	v_addc_co_u32_e32 v7, vcc, 0, v7, vcc
	s_andn2_b64 exec, exec, s[4:5]
	s_cbranch_execz .LBB37_6
.LBB37_4:                               ; =>This Inner Loop Header: Depth=1
	global_load_dwordx2 v[8:9], v[2:3], off
	s_waitcnt vmcnt(0)
	v_subrev_co_u32_e32 v8, vcc, s6, v8
	v_subb_co_u32_e32 v9, vcc, v9, v10, vcc
	v_cmp_lt_i64_e32 vcc, -1, v[8:9]
	v_cmp_gt_i64_e64 s[0:1], s[10:11], v[8:9]
	s_and_b64 s[12:13], vcc, s[0:1]
	s_and_saveexec_b64 s[0:1], s[12:13]
	s_cbranch_execz .LBB37_3
; %bb.5:                                ;   in Loop: Header=BB37_4 Depth=1
	v_mad_u64_u32 v[12:13], s[12:13], s2, v8, v[6:7]
	v_mul_lo_u32 v9, s2, v9
	v_mul_lo_u32 v8, s3, v8
	v_add3_u32 v13, v8, v13, v9
	global_load_dword v8, v[12:13], off
	s_waitcnt vmcnt(0)
	global_store_dword v[4:5], v8, off
	s_branch .LBB37_3
.LBB37_6:
	s_endpgm
	.section	.rodata,"a",@progbits
	.p2align	6, 0x0
	.amdhsa_kernel _ZN9rocsparseL23sddmm_ell_sample_kernelILi16ELi64EflfEEvT2_S1_PKT3_lS1_PS2_PKS1_21rocsparse_index_base_
		.amdhsa_group_segment_fixed_size 0
		.amdhsa_private_segment_fixed_size 0
		.amdhsa_kernarg_size 60
		.amdhsa_user_sgpr_count 6
		.amdhsa_user_sgpr_private_segment_buffer 1
		.amdhsa_user_sgpr_dispatch_ptr 0
		.amdhsa_user_sgpr_queue_ptr 0
		.amdhsa_user_sgpr_kernarg_segment_ptr 1
		.amdhsa_user_sgpr_dispatch_id 0
		.amdhsa_user_sgpr_flat_scratch_init 0
		.amdhsa_user_sgpr_kernarg_preload_length 0
		.amdhsa_user_sgpr_kernarg_preload_offset 0
		.amdhsa_user_sgpr_private_segment_size 0
		.amdhsa_uses_dynamic_stack 0
		.amdhsa_system_sgpr_private_segment_wavefront_offset 0
		.amdhsa_system_sgpr_workgroup_id_x 1
		.amdhsa_system_sgpr_workgroup_id_y 0
		.amdhsa_system_sgpr_workgroup_id_z 0
		.amdhsa_system_sgpr_workgroup_info 0
		.amdhsa_system_vgpr_workitem_id 0
		.amdhsa_next_free_vgpr 14
		.amdhsa_next_free_sgpr 18
		.amdhsa_accum_offset 16
		.amdhsa_reserve_vcc 1
		.amdhsa_reserve_flat_scratch 0
		.amdhsa_float_round_mode_32 0
		.amdhsa_float_round_mode_16_64 0
		.amdhsa_float_denorm_mode_32 3
		.amdhsa_float_denorm_mode_16_64 3
		.amdhsa_dx10_clamp 1
		.amdhsa_ieee_mode 1
		.amdhsa_fp16_overflow 0
		.amdhsa_tg_split 0
		.amdhsa_exception_fp_ieee_invalid_op 0
		.amdhsa_exception_fp_denorm_src 0
		.amdhsa_exception_fp_ieee_div_zero 0
		.amdhsa_exception_fp_ieee_overflow 0
		.amdhsa_exception_fp_ieee_underflow 0
		.amdhsa_exception_fp_ieee_inexact 0
		.amdhsa_exception_int_div_zero 0
	.end_amdhsa_kernel
	.section	.text._ZN9rocsparseL23sddmm_ell_sample_kernelILi16ELi64EflfEEvT2_S1_PKT3_lS1_PS2_PKS1_21rocsparse_index_base_,"axG",@progbits,_ZN9rocsparseL23sddmm_ell_sample_kernelILi16ELi64EflfEEvT2_S1_PKT3_lS1_PS2_PKS1_21rocsparse_index_base_,comdat
.Lfunc_end37:
	.size	_ZN9rocsparseL23sddmm_ell_sample_kernelILi16ELi64EflfEEvT2_S1_PKT3_lS1_PS2_PKS1_21rocsparse_index_base_, .Lfunc_end37-_ZN9rocsparseL23sddmm_ell_sample_kernelILi16ELi64EflfEEvT2_S1_PKT3_lS1_PS2_PKS1_21rocsparse_index_base_
                                        ; -- End function
	.section	.AMDGPU.csdata,"",@progbits
; Kernel info:
; codeLenInByte = 372
; NumSgprs: 22
; NumVgprs: 14
; NumAgprs: 0
; TotalNumVgprs: 14
; ScratchSize: 0
; MemoryBound: 0
; FloatMode: 240
; IeeeMode: 1
; LDSByteSize: 0 bytes/workgroup (compile time only)
; SGPRBlocks: 2
; VGPRBlocks: 1
; NumSGPRsForWavesPerEU: 22
; NumVGPRsForWavesPerEU: 14
; AccumOffset: 16
; Occupancy: 8
; WaveLimiterHint : 1
; COMPUTE_PGM_RSRC2:SCRATCH_EN: 0
; COMPUTE_PGM_RSRC2:USER_SGPR: 6
; COMPUTE_PGM_RSRC2:TRAP_HANDLER: 0
; COMPUTE_PGM_RSRC2:TGID_X_EN: 1
; COMPUTE_PGM_RSRC2:TGID_Y_EN: 0
; COMPUTE_PGM_RSRC2:TGID_Z_EN: 0
; COMPUTE_PGM_RSRC2:TIDIG_COMP_CNT: 0
; COMPUTE_PGM_RSRC3_GFX90A:ACCUM_OFFSET: 3
; COMPUTE_PGM_RSRC3_GFX90A:TG_SPLIT: 0
	.section	.text._ZN9rocsparseL16sddmm_ell_kernelILi512ELi8EfllfffEEv20rocsparse_operation_S1_16rocsparse_order_S2_T3_S3_S3_T2_NS_24const_host_device_scalarIT1_EEPKT4_lPKT5_lS7_PT6_PKS3_21rocsparse_index_base_b,"axG",@progbits,_ZN9rocsparseL16sddmm_ell_kernelILi512ELi8EfllfffEEv20rocsparse_operation_S1_16rocsparse_order_S2_T3_S3_S3_T2_NS_24const_host_device_scalarIT1_EEPKT4_lPKT5_lS7_PT6_PKS3_21rocsparse_index_base_b,comdat
	.globl	_ZN9rocsparseL16sddmm_ell_kernelILi512ELi8EfllfffEEv20rocsparse_operation_S1_16rocsparse_order_S2_T3_S3_S3_T2_NS_24const_host_device_scalarIT1_EEPKT4_lPKT5_lS7_PT6_PKS3_21rocsparse_index_base_b ; -- Begin function _ZN9rocsparseL16sddmm_ell_kernelILi512ELi8EfllfffEEv20rocsparse_operation_S1_16rocsparse_order_S2_T3_S3_S3_T2_NS_24const_host_device_scalarIT1_EEPKT4_lPKT5_lS7_PT6_PKS3_21rocsparse_index_base_b
	.p2align	8
	.type	_ZN9rocsparseL16sddmm_ell_kernelILi512ELi8EfllfffEEv20rocsparse_operation_S1_16rocsparse_order_S2_T3_S3_S3_T2_NS_24const_host_device_scalarIT1_EEPKT4_lPKT5_lS7_PT6_PKS3_21rocsparse_index_base_b,@function
_ZN9rocsparseL16sddmm_ell_kernelILi512ELi8EfllfffEEv20rocsparse_operation_S1_16rocsparse_order_S2_T3_S3_S3_T2_NS_24const_host_device_scalarIT1_EEPKT4_lPKT5_lS7_PT6_PKS3_21rocsparse_index_base_b: ; @_ZN9rocsparseL16sddmm_ell_kernelILi512ELi8EfllfffEEv20rocsparse_operation_S1_16rocsparse_order_S2_T3_S3_S3_T2_NS_24const_host_device_scalarIT1_EEPKT4_lPKT5_lS7_PT6_PKS3_21rocsparse_index_base_b
; %bb.0:
	s_load_dwordx2 s[18:19], s[4:5], 0x70
	s_load_dwordx2 s[16:17], s[4:5], 0x30
	s_load_dwordx4 s[8:11], s[4:5], 0x50
	s_waitcnt lgkmcnt(0)
	s_bitcmp1_b32 s19, 0
	s_cselect_b64 s[2:3], -1, 0
	s_xor_b64 s[0:1], s[2:3], -1
	s_and_b64 vcc, exec, s[2:3]
	s_cbranch_vccnz .LBB38_2
; %bb.1:
	s_load_dword s16, s[16:17], 0x0
.LBB38_2:
	s_andn2_b64 vcc, exec, s[0:1]
	s_cbranch_vccnz .LBB38_4
; %bb.3:
	s_load_dword s10, s[10:11], 0x0
.LBB38_4:
	s_waitcnt lgkmcnt(0)
	v_cmp_eq_f32_e64 s[0:1], s16, 0
	v_cmp_eq_f32_e64 s[2:3], s10, 1.0
	s_and_b64 s[0:1], s[0:1], s[2:3]
	s_and_b64 vcc, exec, s[0:1]
	s_cbranch_vccnz .LBB38_39
; %bb.5:
	s_load_dwordx4 s[12:15], s[4:5], 0x20
	v_lshrrev_b32_e32 v10, 3, v0
	v_lshl_or_b32 v2, s6, 6, v10
	v_mov_b32_e32 v3, 0
	s_waitcnt lgkmcnt(0)
	v_cmp_gt_i64_e32 vcc, s[14:15], v[2:3]
	s_and_saveexec_b64 s[0:1], vcc
	s_cbranch_execz .LBB38_39
; %bb.6:
	s_load_dwordx2 s[14:15], s[4:5], 0x10
	s_load_dwordx2 s[6:7], s[4:5], 0x68
	s_mov_b32 s0, 0
                                        ; implicit-def: $vgpr8_vgpr9
	s_waitcnt lgkmcnt(0)
	s_mov_b32 s1, s15
	s_cmp_lg_u64 s[0:1], 0
	s_cselect_b64 s[0:1], -1, 0
	s_and_saveexec_b64 s[2:3], s[0:1]
	s_xor_b64 s[20:21], exec, s[2:3]
	s_cbranch_execz .LBB38_8
; %bb.7:
	s_ashr_i32 s0, s15, 31
	s_add_u32 s2, s14, s0
	s_mov_b32 s1, s0
	s_addc_u32 s3, s15, s0
	s_xor_b64 s[22:23], s[2:3], s[0:1]
	v_cvt_f32_u32_e32 v1, s22
	v_cvt_f32_u32_e32 v4, s23
	s_sub_u32 s0, 0, s22
	s_subb_u32 s1, 0, s23
	v_madmk_f32 v1, v4, 0x4f800000, v1
	v_rcp_f32_e32 v1, v1
	v_mul_f32_e32 v1, 0x5f7ffffc, v1
	v_mul_f32_e32 v4, 0x2f800000, v1
	v_trunc_f32_e32 v4, v4
	v_madmk_f32 v1, v4, 0xcf800000, v1
	v_cvt_u32_f32_e32 v4, v4
	v_cvt_u32_f32_e32 v1, v1
	v_mul_lo_u32 v5, s0, v4
	v_mul_hi_u32 v7, s0, v1
	v_mul_lo_u32 v6, s1, v1
	v_add_u32_e32 v5, v7, v5
	v_mul_lo_u32 v8, s0, v1
	v_add_u32_e32 v5, v5, v6
	v_mul_lo_u32 v7, v1, v5
	v_mul_hi_u32 v9, v1, v8
	v_mul_hi_u32 v6, v1, v5
	v_add_co_u32_e32 v7, vcc, v9, v7
	v_addc_co_u32_e32 v6, vcc, 0, v6, vcc
	v_mul_hi_u32 v11, v4, v8
	v_mul_lo_u32 v8, v4, v8
	v_add_co_u32_e32 v7, vcc, v7, v8
	v_mul_hi_u32 v9, v4, v5
	v_addc_co_u32_e32 v6, vcc, v6, v11, vcc
	v_addc_co_u32_e32 v7, vcc, 0, v9, vcc
	v_mul_lo_u32 v5, v4, v5
	v_add_co_u32_e32 v5, vcc, v6, v5
	v_addc_co_u32_e32 v6, vcc, 0, v7, vcc
	v_add_co_u32_e32 v1, vcc, v1, v5
	v_addc_co_u32_e32 v4, vcc, v4, v6, vcc
	v_mul_lo_u32 v5, s0, v4
	v_mul_hi_u32 v6, s0, v1
	v_add_u32_e32 v5, v6, v5
	v_mul_lo_u32 v6, s1, v1
	v_add_u32_e32 v5, v5, v6
	v_mul_lo_u32 v7, s0, v1
	v_mul_hi_u32 v8, v4, v7
	v_mul_lo_u32 v9, v4, v7
	v_mul_lo_u32 v12, v1, v5
	v_mul_hi_u32 v7, v1, v7
	v_mul_hi_u32 v11, v1, v5
	v_add_co_u32_e32 v7, vcc, v7, v12
	v_addc_co_u32_e32 v11, vcc, 0, v11, vcc
	v_add_co_u32_e32 v7, vcc, v7, v9
	v_mul_hi_u32 v6, v4, v5
	v_addc_co_u32_e32 v7, vcc, v11, v8, vcc
	v_addc_co_u32_e32 v6, vcc, 0, v6, vcc
	v_mul_lo_u32 v5, v4, v5
	v_add_co_u32_e32 v5, vcc, v7, v5
	v_addc_co_u32_e32 v6, vcc, 0, v6, vcc
	v_add_co_u32_e32 v1, vcc, v1, v5
	v_addc_co_u32_e32 v6, vcc, v4, v6, vcc
	v_mad_u64_u32 v[4:5], s[0:1], v2, v6, 0
	v_mul_hi_u32 v7, v2, v1
	v_add_co_u32_e32 v8, vcc, v7, v4
	v_addc_co_u32_e32 v9, vcc, 0, v5, vcc
	v_mad_u64_u32 v[4:5], s[0:1], 0, v6, 0
	v_mad_u64_u32 v[6:7], s[0:1], 0, v1, 0
	v_add_co_u32_e32 v1, vcc, v8, v6
	v_addc_co_u32_e32 v1, vcc, v9, v7, vcc
	v_addc_co_u32_e32 v5, vcc, 0, v5, vcc
	v_add_co_u32_e32 v1, vcc, v1, v4
	v_addc_co_u32_e32 v4, vcc, 0, v5, vcc
	v_mul_lo_u32 v6, s23, v1
	v_mul_lo_u32 v7, s22, v4
	v_mad_u64_u32 v[4:5], s[0:1], s22, v1, 0
	v_add3_u32 v1, v5, v7, v6
	v_sub_u32_e32 v5, 0, v1
	v_mov_b32_e32 v6, s23
	v_sub_co_u32_e32 v4, vcc, v2, v4
	v_subb_co_u32_e64 v5, s[0:1], v5, v6, vcc
	v_subrev_co_u32_e64 v7, s[0:1], s22, v4
	v_subbrev_co_u32_e64 v8, s[2:3], 0, v5, s[0:1]
	v_cmp_le_u32_e64 s[2:3], s23, v8
	v_cndmask_b32_e64 v9, 0, -1, s[2:3]
	v_cmp_le_u32_e64 s[2:3], s22, v7
	v_subb_co_u32_e64 v5, s[0:1], v5, v6, s[0:1]
	v_cndmask_b32_e64 v11, 0, -1, s[2:3]
	v_cmp_eq_u32_e64 s[2:3], s23, v8
	v_subrev_co_u32_e64 v6, s[0:1], s22, v7
	v_cndmask_b32_e64 v9, v9, v11, s[2:3]
	v_subbrev_co_u32_e64 v5, s[0:1], 0, v5, s[0:1]
	v_subb_co_u32_e32 v1, vcc, 0, v1, vcc
	v_cmp_ne_u32_e64 s[0:1], 0, v9
	v_cmp_le_u32_e32 vcc, s23, v1
	v_cndmask_b32_e64 v5, v8, v5, s[0:1]
	v_cndmask_b32_e64 v8, 0, -1, vcc
	v_cmp_le_u32_e32 vcc, s22, v4
	v_cndmask_b32_e64 v9, 0, -1, vcc
	v_cmp_eq_u32_e32 vcc, s23, v1
	v_cndmask_b32_e32 v8, v8, v9, vcc
	v_cmp_ne_u32_e32 vcc, 0, v8
	v_cndmask_b32_e32 v1, v1, v5, vcc
	v_cndmask_b32_e64 v5, v7, v6, s[0:1]
	v_cndmask_b32_e32 v4, v4, v5, vcc
	v_subrev_co_u32_e32 v8, vcc, 0, v4
	v_subbrev_co_u32_e32 v9, vcc, 0, v1, vcc
.LBB38_8:
	s_andn2_saveexec_b64 s[0:1], s[20:21]
	s_cbranch_execz .LBB38_10
; %bb.9:
	v_cvt_f32_u32_e32 v1, s14
	s_sub_i32 s2, 0, s14
	v_mov_b32_e32 v9, 0
	v_rcp_iflag_f32_e32 v1, v1
	v_mul_f32_e32 v1, 0x4f7ffffe, v1
	v_cvt_u32_f32_e32 v1, v1
	v_mul_lo_u32 v4, s2, v1
	v_mul_hi_u32 v4, v1, v4
	v_add_u32_e32 v1, v1, v4
	v_mul_hi_u32 v1, v2, v1
	v_mul_lo_u32 v1, v1, s14
	v_sub_u32_e32 v1, v2, v1
	v_subrev_u32_e32 v4, s14, v1
	v_cmp_le_u32_e32 vcc, s14, v1
	v_cndmask_b32_e32 v1, v1, v4, vcc
	v_subrev_u32_e32 v4, s14, v1
	v_cmp_le_u32_e32 vcc, s14, v1
	v_cndmask_b32_e32 v8, v1, v4, vcc
.LBB38_10:
	s_or_b64 exec, exec, s[0:1]
	v_lshlrev_b64 v[4:5], 3, v[2:3]
	v_mov_b32_e32 v1, s7
	v_add_co_u32_e32 v4, vcc, s6, v4
	v_addc_co_u32_e32 v5, vcc, v1, v5, vcc
	global_load_dwordx2 v[4:5], v[4:5], off
	s_mov_b64 s[22:23], -1
	s_waitcnt vmcnt(0)
	v_subrev_co_u32_e32 v6, vcc, s18, v4
	v_subbrev_co_u32_e32 v7, vcc, 0, v5, vcc
	v_cmp_lt_i64_e32 vcc, -1, v[6:7]
	s_and_b64 exec, exec, vcc
	s_cbranch_execz .LBB38_39
; %bb.11:
	s_load_dwordx4 s[0:3], s[4:5], 0x0
	s_load_dwordx2 s[6:7], s[4:5], 0x40
	s_waitcnt lgkmcnt(0)
	s_cmp_eq_u32 s2, 1
	s_cselect_b64 s[14:15], -1, 0
	s_cmpk_eq_i32 s0, 0x6f
	s_cselect_b64 s[18:19], -1, 0
	s_cmpk_lg_i32 s0, 0x6f
	s_cselect_b64 s[20:21], -1, 0
	s_cmp_lg_u32 s2, 1
	s_cbranch_scc0 .LBB38_15
; %bb.12:
	s_andn2_b64 vcc, exec, s[18:19]
	v_pk_mov_b32 v[4:5], v[8:9], v[8:9] op_sel:[0,1]
	s_cbranch_vccnz .LBB38_14
; %bb.13:
	v_mul_lo_u32 v1, v9, s6
	v_mul_lo_u32 v11, v8, s7
	v_mad_u64_u32 v[4:5], s[22:23], v8, s6, 0
	v_add3_u32 v5, v5, v11, v1
.LBB38_14:
	s_cbranch_execz .LBB38_16
	s_branch .LBB38_19
.LBB38_15:
                                        ; implicit-def: $vgpr4_vgpr5
	s_andn2_b64 vcc, exec, s[22:23]
	s_cbranch_vccnz .LBB38_19
.LBB38_16:
	s_andn2_b64 vcc, exec, s[20:21]
	s_cbranch_vccnz .LBB38_18
; %bb.17:
	v_mul_lo_u32 v1, v9, s6
	v_mul_lo_u32 v4, v8, s7
	v_mad_u64_u32 v[8:9], s[20:21], v8, s6, 0
	v_add3_u32 v9, v9, v4, v1
.LBB38_18:
	v_pk_mov_b32 v[4:5], v[8:9], v[8:9] op_sel:[0,1]
.LBB38_19:
	s_cmp_eq_u32 s3, 1
	s_cselect_b64 s[20:21], -1, 0
	s_cmpk_eq_i32 s1, 0x6f
	s_cselect_b64 s[22:23], -1, 0
	s_cmpk_lg_i32 s1, 0x6f
	s_cselect_b64 s[0:1], -1, 0
	s_cmp_lg_u32 s3, 1
	s_cbranch_scc0 .LBB38_23
; %bb.20:
	s_andn2_b64 vcc, exec, s[0:1]
	v_pk_mov_b32 v[8:9], v[6:7], v[6:7] op_sel:[0,1]
	s_cbranch_vccnz .LBB38_22
; %bb.21:
	v_mul_lo_u32 v1, v7, s8
	v_mul_lo_u32 v11, v6, s9
	v_mad_u64_u32 v[8:9], s[0:1], v6, s8, 0
	v_add3_u32 v9, v9, v11, v1
.LBB38_22:
	s_cbranch_execz .LBB38_24
	s_branch .LBB38_27
.LBB38_23:
                                        ; implicit-def: $vgpr8_vgpr9
.LBB38_24:
	s_andn2_b64 vcc, exec, s[22:23]
	s_cbranch_vccnz .LBB38_26
; %bb.25:
	v_mul_lo_u32 v1, v7, s8
	v_mul_lo_u32 v8, v6, s9
	v_mad_u64_u32 v[6:7], s[0:1], v6, s8, 0
	v_add3_u32 v7, v7, v8, v1
.LBB38_26:
	v_pk_mov_b32 v[8:9], v[6:7], v[6:7] op_sel:[0,1]
.LBB38_27:
	s_load_dwordx2 s[0:1], s[4:5], 0x60
	v_and_b32_e32 v0, 7, v0
	v_mov_b32_e32 v1, 0
	v_cmp_gt_i64_e32 vcc, s[12:13], v[0:1]
	s_and_saveexec_b64 s[2:3], vcc
	s_cbranch_execz .LBB38_31
; %bb.28:
	s_load_dwordx2 s[24:25], s[4:5], 0x38
	s_load_dwordx2 s[26:27], s[4:5], 0x48
	s_xor_b64 s[4:5], s[18:19], s[14:15]
	s_and_b64 s[4:5], s[4:5], exec
	s_cselect_b32 s7, 0, s7
	s_cselect_b32 s6, 1, s6
	s_xor_b64 s[4:5], s[22:23], s[20:21]
	s_and_b64 s[4:5], s[4:5], exec
	s_cselect_b32 s4, s8, 1
	s_cselect_b32 s5, s9, 0
	v_mad_u64_u32 v[6:7], s[8:9], s4, v0, 0
	v_mov_b32_e32 v12, v7
	v_mad_u64_u32 v[12:13], s[8:9], s5, v0, v[12:13]
	v_mov_b32_e32 v7, v12
	v_lshlrev_b64 v[6:7], 2, v[6:7]
	v_lshlrev_b64 v[8:9], 2, v[8:9]
	v_add_co_u32_e32 v6, vcc, v6, v8
	v_addc_co_u32_e32 v7, vcc, v7, v9, vcc
	s_waitcnt lgkmcnt(0)
	v_mov_b32_e32 v8, s27
	v_add_co_u32_e32 v6, vcc, s26, v6
	v_addc_co_u32_e32 v7, vcc, v8, v7, vcc
	v_mad_u64_u32 v[8:9], s[8:9], s6, v0, 0
	v_mov_b32_e32 v12, v9
	v_mad_u64_u32 v[12:13], s[8:9], s7, v0, v[12:13]
	v_mov_b32_e32 v9, v12
	v_lshlrev_b64 v[8:9], 2, v[8:9]
	v_lshlrev_b64 v[4:5], 2, v[4:5]
	v_add_co_u32_e32 v4, vcc, v8, v4
	v_addc_co_u32_e32 v5, vcc, v9, v5, vcc
	s_lshl_b64 s[4:5], s[4:5], 5
	v_mov_b32_e32 v8, s25
	v_add_co_u32_e32 v4, vcc, s24, v4
	s_lshl_b64 s[8:9], s[6:7], 5
	v_mov_b32_e32 v13, 0
	v_addc_co_u32_e32 v5, vcc, v8, v5, vcc
	s_mov_b64 s[6:7], 0
	v_mov_b32_e32 v11, s5
	v_mov_b32_e32 v12, s9
	v_pk_mov_b32 v[8:9], v[0:1], v[0:1] op_sel:[0,1]
	v_mov_b32_e32 v1, v13
.LBB38_29:                              ; =>This Inner Loop Header: Depth=1
	global_load_dword v13, v[4:5], off
	global_load_dword v14, v[6:7], off
	v_add_co_u32_e32 v8, vcc, 8, v8
	v_addc_co_u32_e32 v9, vcc, 0, v9, vcc
	v_add_co_u32_e32 v6, vcc, s4, v6
	v_addc_co_u32_e32 v7, vcc, v7, v11, vcc
	;; [unrolled: 2-line block ×3, first 2 shown]
	v_cmp_le_i64_e32 vcc, s[12:13], v[8:9]
	s_or_b64 s[6:7], vcc, s[6:7]
	s_waitcnt vmcnt(0)
	v_fmac_f32_e32 v1, v13, v14
	s_andn2_b64 exec, exec, s[6:7]
	s_cbranch_execnz .LBB38_29
; %bb.30:
	s_or_b64 exec, exec, s[6:7]
.LBB38_31:
	s_or_b64 exec, exec, s[2:3]
	v_lshlrev_b32_e32 v4, 2, v0
	v_lshl_or_b32 v4, v10, 5, v4
	v_cmp_gt_u32_e32 vcc, 4, v0
	ds_write_b32 v4, v1
	s_waitcnt lgkmcnt(0)
	s_barrier
	s_and_saveexec_b64 s[2:3], vcc
	s_cbranch_execz .LBB38_33
; %bb.32:
	ds_read2_b32 v[6:7], v4 offset1:4
	s_waitcnt lgkmcnt(0)
	v_add_f32_e32 v1, v7, v6
	ds_write_b32 v4, v1
.LBB38_33:
	s_or_b64 exec, exec, s[2:3]
	v_cmp_gt_u32_e32 vcc, 2, v0
	s_waitcnt lgkmcnt(0)
	s_barrier
	s_and_saveexec_b64 s[2:3], vcc
	s_cbranch_execz .LBB38_35
; %bb.34:
	ds_read2_b32 v[6:7], v4 offset1:2
	s_waitcnt lgkmcnt(0)
	v_add_f32_e32 v1, v7, v6
	ds_write_b32 v4, v1
.LBB38_35:
	s_or_b64 exec, exec, s[2:3]
	v_cmp_eq_u32_e32 vcc, 0, v0
	v_lshlrev_b32_e32 v0, 5, v10
	s_waitcnt lgkmcnt(0)
	s_barrier
	s_and_saveexec_b64 s[2:3], vcc
	s_cbranch_execz .LBB38_37
; %bb.36:
	ds_read_b32 v1, v0 offset:4
	ds_read_b32 v5, v4
	s_waitcnt lgkmcnt(0)
	v_add_f32_e32 v1, v1, v5
	ds_write_b32 v4, v1
.LBB38_37:
	s_or_b64 exec, exec, s[2:3]
	s_waitcnt lgkmcnt(0)
	s_barrier
	s_and_b64 exec, exec, vcc
	s_cbranch_execz .LBB38_39
; %bb.38:
	v_lshlrev_b64 v[2:3], 2, v[2:3]
	v_mov_b32_e32 v1, s1
	v_add_co_u32_e32 v2, vcc, s0, v2
	v_addc_co_u32_e32 v3, vcc, v1, v3, vcc
	global_load_dword v1, v[2:3], off
	ds_read_b32 v0, v0
	s_waitcnt lgkmcnt(0)
	v_mul_f32_e32 v0, s16, v0
	s_waitcnt vmcnt(0)
	v_fmac_f32_e32 v0, s10, v1
	global_store_dword v[2:3], v0, off
.LBB38_39:
	s_endpgm
	.section	.rodata,"a",@progbits
	.p2align	6, 0x0
	.amdhsa_kernel _ZN9rocsparseL16sddmm_ell_kernelILi512ELi8EfllfffEEv20rocsparse_operation_S1_16rocsparse_order_S2_T3_S3_S3_T2_NS_24const_host_device_scalarIT1_EEPKT4_lPKT5_lS7_PT6_PKS3_21rocsparse_index_base_b
		.amdhsa_group_segment_fixed_size 2048
		.amdhsa_private_segment_fixed_size 0
		.amdhsa_kernarg_size 120
		.amdhsa_user_sgpr_count 6
		.amdhsa_user_sgpr_private_segment_buffer 1
		.amdhsa_user_sgpr_dispatch_ptr 0
		.amdhsa_user_sgpr_queue_ptr 0
		.amdhsa_user_sgpr_kernarg_segment_ptr 1
		.amdhsa_user_sgpr_dispatch_id 0
		.amdhsa_user_sgpr_flat_scratch_init 0
		.amdhsa_user_sgpr_kernarg_preload_length 0
		.amdhsa_user_sgpr_kernarg_preload_offset 0
		.amdhsa_user_sgpr_private_segment_size 0
		.amdhsa_uses_dynamic_stack 0
		.amdhsa_system_sgpr_private_segment_wavefront_offset 0
		.amdhsa_system_sgpr_workgroup_id_x 1
		.amdhsa_system_sgpr_workgroup_id_y 0
		.amdhsa_system_sgpr_workgroup_id_z 0
		.amdhsa_system_sgpr_workgroup_info 0
		.amdhsa_system_vgpr_workitem_id 0
		.amdhsa_next_free_vgpr 15
		.amdhsa_next_free_sgpr 28
		.amdhsa_accum_offset 16
		.amdhsa_reserve_vcc 1
		.amdhsa_reserve_flat_scratch 0
		.amdhsa_float_round_mode_32 0
		.amdhsa_float_round_mode_16_64 0
		.amdhsa_float_denorm_mode_32 3
		.amdhsa_float_denorm_mode_16_64 3
		.amdhsa_dx10_clamp 1
		.amdhsa_ieee_mode 1
		.amdhsa_fp16_overflow 0
		.amdhsa_tg_split 0
		.amdhsa_exception_fp_ieee_invalid_op 0
		.amdhsa_exception_fp_denorm_src 0
		.amdhsa_exception_fp_ieee_div_zero 0
		.amdhsa_exception_fp_ieee_overflow 0
		.amdhsa_exception_fp_ieee_underflow 0
		.amdhsa_exception_fp_ieee_inexact 0
		.amdhsa_exception_int_div_zero 0
	.end_amdhsa_kernel
	.section	.text._ZN9rocsparseL16sddmm_ell_kernelILi512ELi8EfllfffEEv20rocsparse_operation_S1_16rocsparse_order_S2_T3_S3_S3_T2_NS_24const_host_device_scalarIT1_EEPKT4_lPKT5_lS7_PT6_PKS3_21rocsparse_index_base_b,"axG",@progbits,_ZN9rocsparseL16sddmm_ell_kernelILi512ELi8EfllfffEEv20rocsparse_operation_S1_16rocsparse_order_S2_T3_S3_S3_T2_NS_24const_host_device_scalarIT1_EEPKT4_lPKT5_lS7_PT6_PKS3_21rocsparse_index_base_b,comdat
.Lfunc_end38:
	.size	_ZN9rocsparseL16sddmm_ell_kernelILi512ELi8EfllfffEEv20rocsparse_operation_S1_16rocsparse_order_S2_T3_S3_S3_T2_NS_24const_host_device_scalarIT1_EEPKT4_lPKT5_lS7_PT6_PKS3_21rocsparse_index_base_b, .Lfunc_end38-_ZN9rocsparseL16sddmm_ell_kernelILi512ELi8EfllfffEEv20rocsparse_operation_S1_16rocsparse_order_S2_T3_S3_S3_T2_NS_24const_host_device_scalarIT1_EEPKT4_lPKT5_lS7_PT6_PKS3_21rocsparse_index_base_b
                                        ; -- End function
	.section	.AMDGPU.csdata,"",@progbits
; Kernel info:
; codeLenInByte = 1852
; NumSgprs: 32
; NumVgprs: 15
; NumAgprs: 0
; TotalNumVgprs: 15
; ScratchSize: 0
; MemoryBound: 0
; FloatMode: 240
; IeeeMode: 1
; LDSByteSize: 2048 bytes/workgroup (compile time only)
; SGPRBlocks: 3
; VGPRBlocks: 1
; NumSGPRsForWavesPerEU: 32
; NumVGPRsForWavesPerEU: 15
; AccumOffset: 16
; Occupancy: 8
; WaveLimiterHint : 0
; COMPUTE_PGM_RSRC2:SCRATCH_EN: 0
; COMPUTE_PGM_RSRC2:USER_SGPR: 6
; COMPUTE_PGM_RSRC2:TRAP_HANDLER: 0
; COMPUTE_PGM_RSRC2:TGID_X_EN: 1
; COMPUTE_PGM_RSRC2:TGID_Y_EN: 0
; COMPUTE_PGM_RSRC2:TGID_Z_EN: 0
; COMPUTE_PGM_RSRC2:TIDIG_COMP_CNT: 0
; COMPUTE_PGM_RSRC3_GFX90A:ACCUM_OFFSET: 3
; COMPUTE_PGM_RSRC3_GFX90A:TG_SPLIT: 0
	.section	.text._ZN9rocsparseL16sddmm_ell_kernelILi512ELi4EfllfffEEv20rocsparse_operation_S1_16rocsparse_order_S2_T3_S3_S3_T2_NS_24const_host_device_scalarIT1_EEPKT4_lPKT5_lS7_PT6_PKS3_21rocsparse_index_base_b,"axG",@progbits,_ZN9rocsparseL16sddmm_ell_kernelILi512ELi4EfllfffEEv20rocsparse_operation_S1_16rocsparse_order_S2_T3_S3_S3_T2_NS_24const_host_device_scalarIT1_EEPKT4_lPKT5_lS7_PT6_PKS3_21rocsparse_index_base_b,comdat
	.globl	_ZN9rocsparseL16sddmm_ell_kernelILi512ELi4EfllfffEEv20rocsparse_operation_S1_16rocsparse_order_S2_T3_S3_S3_T2_NS_24const_host_device_scalarIT1_EEPKT4_lPKT5_lS7_PT6_PKS3_21rocsparse_index_base_b ; -- Begin function _ZN9rocsparseL16sddmm_ell_kernelILi512ELi4EfllfffEEv20rocsparse_operation_S1_16rocsparse_order_S2_T3_S3_S3_T2_NS_24const_host_device_scalarIT1_EEPKT4_lPKT5_lS7_PT6_PKS3_21rocsparse_index_base_b
	.p2align	8
	.type	_ZN9rocsparseL16sddmm_ell_kernelILi512ELi4EfllfffEEv20rocsparse_operation_S1_16rocsparse_order_S2_T3_S3_S3_T2_NS_24const_host_device_scalarIT1_EEPKT4_lPKT5_lS7_PT6_PKS3_21rocsparse_index_base_b,@function
_ZN9rocsparseL16sddmm_ell_kernelILi512ELi4EfllfffEEv20rocsparse_operation_S1_16rocsparse_order_S2_T3_S3_S3_T2_NS_24const_host_device_scalarIT1_EEPKT4_lPKT5_lS7_PT6_PKS3_21rocsparse_index_base_b: ; @_ZN9rocsparseL16sddmm_ell_kernelILi512ELi4EfllfffEEv20rocsparse_operation_S1_16rocsparse_order_S2_T3_S3_S3_T2_NS_24const_host_device_scalarIT1_EEPKT4_lPKT5_lS7_PT6_PKS3_21rocsparse_index_base_b
; %bb.0:
	s_load_dwordx2 s[18:19], s[4:5], 0x70
	s_load_dwordx2 s[16:17], s[4:5], 0x30
	s_load_dwordx4 s[8:11], s[4:5], 0x50
	s_waitcnt lgkmcnt(0)
	s_bitcmp1_b32 s19, 0
	s_cselect_b64 s[2:3], -1, 0
	s_xor_b64 s[0:1], s[2:3], -1
	s_and_b64 vcc, exec, s[2:3]
	s_cbranch_vccnz .LBB39_2
; %bb.1:
	s_load_dword s16, s[16:17], 0x0
.LBB39_2:
	s_andn2_b64 vcc, exec, s[0:1]
	s_cbranch_vccnz .LBB39_4
; %bb.3:
	s_load_dword s10, s[10:11], 0x0
.LBB39_4:
	s_waitcnt lgkmcnt(0)
	v_cmp_eq_f32_e64 s[0:1], s16, 0
	v_cmp_eq_f32_e64 s[2:3], s10, 1.0
	s_and_b64 s[0:1], s[0:1], s[2:3]
	s_and_b64 vcc, exec, s[0:1]
	s_cbranch_vccnz .LBB39_37
; %bb.5:
	s_load_dwordx4 s[12:15], s[4:5], 0x20
	v_lshrrev_b32_e32 v10, 2, v0
	v_lshl_or_b32 v2, s6, 7, v10
	v_mov_b32_e32 v3, 0
	s_waitcnt lgkmcnt(0)
	v_cmp_gt_i64_e32 vcc, s[14:15], v[2:3]
	s_and_saveexec_b64 s[0:1], vcc
	s_cbranch_execz .LBB39_37
; %bb.6:
	s_load_dwordx2 s[14:15], s[4:5], 0x10
	s_load_dwordx2 s[6:7], s[4:5], 0x68
	s_mov_b32 s0, 0
                                        ; implicit-def: $vgpr8_vgpr9
	s_waitcnt lgkmcnt(0)
	s_mov_b32 s1, s15
	s_cmp_lg_u64 s[0:1], 0
	s_cselect_b64 s[0:1], -1, 0
	s_and_saveexec_b64 s[2:3], s[0:1]
	s_xor_b64 s[20:21], exec, s[2:3]
	s_cbranch_execz .LBB39_8
; %bb.7:
	s_ashr_i32 s0, s15, 31
	s_add_u32 s2, s14, s0
	s_mov_b32 s1, s0
	s_addc_u32 s3, s15, s0
	s_xor_b64 s[22:23], s[2:3], s[0:1]
	v_cvt_f32_u32_e32 v1, s22
	v_cvt_f32_u32_e32 v4, s23
	s_sub_u32 s0, 0, s22
	s_subb_u32 s1, 0, s23
	v_madmk_f32 v1, v4, 0x4f800000, v1
	v_rcp_f32_e32 v1, v1
	v_mul_f32_e32 v1, 0x5f7ffffc, v1
	v_mul_f32_e32 v4, 0x2f800000, v1
	v_trunc_f32_e32 v4, v4
	v_madmk_f32 v1, v4, 0xcf800000, v1
	v_cvt_u32_f32_e32 v4, v4
	v_cvt_u32_f32_e32 v1, v1
	v_mul_lo_u32 v5, s0, v4
	v_mul_hi_u32 v7, s0, v1
	v_mul_lo_u32 v6, s1, v1
	v_add_u32_e32 v5, v7, v5
	v_mul_lo_u32 v8, s0, v1
	v_add_u32_e32 v5, v5, v6
	v_mul_lo_u32 v7, v1, v5
	v_mul_hi_u32 v9, v1, v8
	v_mul_hi_u32 v6, v1, v5
	v_add_co_u32_e32 v7, vcc, v9, v7
	v_addc_co_u32_e32 v6, vcc, 0, v6, vcc
	v_mul_hi_u32 v11, v4, v8
	v_mul_lo_u32 v8, v4, v8
	v_add_co_u32_e32 v7, vcc, v7, v8
	v_mul_hi_u32 v9, v4, v5
	v_addc_co_u32_e32 v6, vcc, v6, v11, vcc
	v_addc_co_u32_e32 v7, vcc, 0, v9, vcc
	v_mul_lo_u32 v5, v4, v5
	v_add_co_u32_e32 v5, vcc, v6, v5
	v_addc_co_u32_e32 v6, vcc, 0, v7, vcc
	v_add_co_u32_e32 v1, vcc, v1, v5
	v_addc_co_u32_e32 v4, vcc, v4, v6, vcc
	v_mul_lo_u32 v5, s0, v4
	v_mul_hi_u32 v6, s0, v1
	v_add_u32_e32 v5, v6, v5
	v_mul_lo_u32 v6, s1, v1
	v_add_u32_e32 v5, v5, v6
	v_mul_lo_u32 v7, s0, v1
	v_mul_hi_u32 v8, v4, v7
	v_mul_lo_u32 v9, v4, v7
	v_mul_lo_u32 v12, v1, v5
	v_mul_hi_u32 v7, v1, v7
	v_mul_hi_u32 v11, v1, v5
	v_add_co_u32_e32 v7, vcc, v7, v12
	v_addc_co_u32_e32 v11, vcc, 0, v11, vcc
	v_add_co_u32_e32 v7, vcc, v7, v9
	v_mul_hi_u32 v6, v4, v5
	v_addc_co_u32_e32 v7, vcc, v11, v8, vcc
	v_addc_co_u32_e32 v6, vcc, 0, v6, vcc
	v_mul_lo_u32 v5, v4, v5
	v_add_co_u32_e32 v5, vcc, v7, v5
	v_addc_co_u32_e32 v6, vcc, 0, v6, vcc
	v_add_co_u32_e32 v1, vcc, v1, v5
	v_addc_co_u32_e32 v6, vcc, v4, v6, vcc
	v_mad_u64_u32 v[4:5], s[0:1], v2, v6, 0
	v_mul_hi_u32 v7, v2, v1
	v_add_co_u32_e32 v8, vcc, v7, v4
	v_addc_co_u32_e32 v9, vcc, 0, v5, vcc
	v_mad_u64_u32 v[4:5], s[0:1], 0, v6, 0
	v_mad_u64_u32 v[6:7], s[0:1], 0, v1, 0
	v_add_co_u32_e32 v1, vcc, v8, v6
	v_addc_co_u32_e32 v1, vcc, v9, v7, vcc
	v_addc_co_u32_e32 v5, vcc, 0, v5, vcc
	v_add_co_u32_e32 v1, vcc, v1, v4
	v_addc_co_u32_e32 v4, vcc, 0, v5, vcc
	v_mul_lo_u32 v6, s23, v1
	v_mul_lo_u32 v7, s22, v4
	v_mad_u64_u32 v[4:5], s[0:1], s22, v1, 0
	v_add3_u32 v1, v5, v7, v6
	v_sub_u32_e32 v5, 0, v1
	v_mov_b32_e32 v6, s23
	v_sub_co_u32_e32 v4, vcc, v2, v4
	v_subb_co_u32_e64 v5, s[0:1], v5, v6, vcc
	v_subrev_co_u32_e64 v7, s[0:1], s22, v4
	v_subbrev_co_u32_e64 v8, s[2:3], 0, v5, s[0:1]
	v_cmp_le_u32_e64 s[2:3], s23, v8
	v_cndmask_b32_e64 v9, 0, -1, s[2:3]
	v_cmp_le_u32_e64 s[2:3], s22, v7
	v_subb_co_u32_e64 v5, s[0:1], v5, v6, s[0:1]
	v_cndmask_b32_e64 v11, 0, -1, s[2:3]
	v_cmp_eq_u32_e64 s[2:3], s23, v8
	v_subrev_co_u32_e64 v6, s[0:1], s22, v7
	v_cndmask_b32_e64 v9, v9, v11, s[2:3]
	v_subbrev_co_u32_e64 v5, s[0:1], 0, v5, s[0:1]
	v_subb_co_u32_e32 v1, vcc, 0, v1, vcc
	v_cmp_ne_u32_e64 s[0:1], 0, v9
	v_cmp_le_u32_e32 vcc, s23, v1
	v_cndmask_b32_e64 v5, v8, v5, s[0:1]
	v_cndmask_b32_e64 v8, 0, -1, vcc
	v_cmp_le_u32_e32 vcc, s22, v4
	v_cndmask_b32_e64 v9, 0, -1, vcc
	v_cmp_eq_u32_e32 vcc, s23, v1
	v_cndmask_b32_e32 v8, v8, v9, vcc
	v_cmp_ne_u32_e32 vcc, 0, v8
	v_cndmask_b32_e32 v1, v1, v5, vcc
	v_cndmask_b32_e64 v5, v7, v6, s[0:1]
	v_cndmask_b32_e32 v4, v4, v5, vcc
	v_subrev_co_u32_e32 v8, vcc, 0, v4
	v_subbrev_co_u32_e32 v9, vcc, 0, v1, vcc
.LBB39_8:
	s_andn2_saveexec_b64 s[0:1], s[20:21]
	s_cbranch_execz .LBB39_10
; %bb.9:
	v_cvt_f32_u32_e32 v1, s14
	s_sub_i32 s2, 0, s14
	v_mov_b32_e32 v9, 0
	v_rcp_iflag_f32_e32 v1, v1
	v_mul_f32_e32 v1, 0x4f7ffffe, v1
	v_cvt_u32_f32_e32 v1, v1
	v_mul_lo_u32 v4, s2, v1
	v_mul_hi_u32 v4, v1, v4
	v_add_u32_e32 v1, v1, v4
	v_mul_hi_u32 v1, v2, v1
	v_mul_lo_u32 v1, v1, s14
	v_sub_u32_e32 v1, v2, v1
	v_subrev_u32_e32 v4, s14, v1
	v_cmp_le_u32_e32 vcc, s14, v1
	v_cndmask_b32_e32 v1, v1, v4, vcc
	v_subrev_u32_e32 v4, s14, v1
	v_cmp_le_u32_e32 vcc, s14, v1
	v_cndmask_b32_e32 v8, v1, v4, vcc
.LBB39_10:
	s_or_b64 exec, exec, s[0:1]
	v_lshlrev_b64 v[4:5], 3, v[2:3]
	v_mov_b32_e32 v1, s7
	v_add_co_u32_e32 v4, vcc, s6, v4
	v_addc_co_u32_e32 v5, vcc, v1, v5, vcc
	global_load_dwordx2 v[4:5], v[4:5], off
	s_mov_b64 s[22:23], -1
	s_waitcnt vmcnt(0)
	v_subrev_co_u32_e32 v6, vcc, s18, v4
	v_subbrev_co_u32_e32 v7, vcc, 0, v5, vcc
	v_cmp_lt_i64_e32 vcc, -1, v[6:7]
	s_and_b64 exec, exec, vcc
	s_cbranch_execz .LBB39_37
; %bb.11:
	s_load_dwordx4 s[0:3], s[4:5], 0x0
	s_load_dwordx2 s[6:7], s[4:5], 0x40
	s_waitcnt lgkmcnt(0)
	s_cmp_eq_u32 s2, 1
	s_cselect_b64 s[14:15], -1, 0
	s_cmpk_eq_i32 s0, 0x6f
	s_cselect_b64 s[18:19], -1, 0
	s_cmpk_lg_i32 s0, 0x6f
	s_cselect_b64 s[20:21], -1, 0
	s_cmp_lg_u32 s2, 1
	s_cbranch_scc0 .LBB39_15
; %bb.12:
	s_andn2_b64 vcc, exec, s[18:19]
	v_pk_mov_b32 v[4:5], v[8:9], v[8:9] op_sel:[0,1]
	s_cbranch_vccnz .LBB39_14
; %bb.13:
	v_mul_lo_u32 v1, v9, s6
	v_mul_lo_u32 v11, v8, s7
	v_mad_u64_u32 v[4:5], s[22:23], v8, s6, 0
	v_add3_u32 v5, v5, v11, v1
.LBB39_14:
	s_cbranch_execz .LBB39_16
	s_branch .LBB39_19
.LBB39_15:
                                        ; implicit-def: $vgpr4_vgpr5
	s_andn2_b64 vcc, exec, s[22:23]
	s_cbranch_vccnz .LBB39_19
.LBB39_16:
	s_andn2_b64 vcc, exec, s[20:21]
	s_cbranch_vccnz .LBB39_18
; %bb.17:
	v_mul_lo_u32 v1, v9, s6
	v_mul_lo_u32 v4, v8, s7
	v_mad_u64_u32 v[8:9], s[20:21], v8, s6, 0
	v_add3_u32 v9, v9, v4, v1
.LBB39_18:
	v_pk_mov_b32 v[4:5], v[8:9], v[8:9] op_sel:[0,1]
.LBB39_19:
	s_cmp_eq_u32 s3, 1
	s_cselect_b64 s[20:21], -1, 0
	s_cmpk_eq_i32 s1, 0x6f
	s_cselect_b64 s[22:23], -1, 0
	s_cmpk_lg_i32 s1, 0x6f
	s_cselect_b64 s[0:1], -1, 0
	s_cmp_lg_u32 s3, 1
	s_cbranch_scc0 .LBB39_23
; %bb.20:
	s_andn2_b64 vcc, exec, s[0:1]
	v_pk_mov_b32 v[8:9], v[6:7], v[6:7] op_sel:[0,1]
	s_cbranch_vccnz .LBB39_22
; %bb.21:
	v_mul_lo_u32 v1, v7, s8
	v_mul_lo_u32 v11, v6, s9
	v_mad_u64_u32 v[8:9], s[0:1], v6, s8, 0
	v_add3_u32 v9, v9, v11, v1
.LBB39_22:
	s_cbranch_execz .LBB39_24
	s_branch .LBB39_27
.LBB39_23:
                                        ; implicit-def: $vgpr8_vgpr9
.LBB39_24:
	s_andn2_b64 vcc, exec, s[22:23]
	s_cbranch_vccnz .LBB39_26
; %bb.25:
	v_mul_lo_u32 v1, v7, s8
	v_mul_lo_u32 v8, v6, s9
	v_mad_u64_u32 v[6:7], s[0:1], v6, s8, 0
	v_add3_u32 v7, v7, v8, v1
.LBB39_26:
	v_pk_mov_b32 v[8:9], v[6:7], v[6:7] op_sel:[0,1]
.LBB39_27:
	s_load_dwordx2 s[0:1], s[4:5], 0x60
	v_and_b32_e32 v0, 3, v0
	v_mov_b32_e32 v1, 0
	v_cmp_gt_i64_e32 vcc, s[12:13], v[0:1]
	s_and_saveexec_b64 s[2:3], vcc
	s_cbranch_execz .LBB39_31
; %bb.28:
	s_load_dwordx2 s[24:25], s[4:5], 0x38
	s_load_dwordx2 s[26:27], s[4:5], 0x48
	s_xor_b64 s[4:5], s[18:19], s[14:15]
	s_and_b64 s[4:5], s[4:5], exec
	s_cselect_b32 s7, 0, s7
	s_cselect_b32 s6, 1, s6
	s_xor_b64 s[4:5], s[22:23], s[20:21]
	s_and_b64 s[4:5], s[4:5], exec
	s_cselect_b32 s4, s8, 1
	s_cselect_b32 s5, s9, 0
	v_mad_u64_u32 v[6:7], s[8:9], s4, v0, 0
	v_mov_b32_e32 v12, v7
	v_mad_u64_u32 v[12:13], s[8:9], s5, v0, v[12:13]
	v_mov_b32_e32 v7, v12
	v_lshlrev_b64 v[6:7], 2, v[6:7]
	v_lshlrev_b64 v[8:9], 2, v[8:9]
	v_add_co_u32_e32 v6, vcc, v6, v8
	v_addc_co_u32_e32 v7, vcc, v7, v9, vcc
	s_waitcnt lgkmcnt(0)
	v_mov_b32_e32 v8, s27
	v_add_co_u32_e32 v6, vcc, s26, v6
	v_addc_co_u32_e32 v7, vcc, v8, v7, vcc
	v_mad_u64_u32 v[8:9], s[8:9], s6, v0, 0
	v_mov_b32_e32 v12, v9
	v_mad_u64_u32 v[12:13], s[8:9], s7, v0, v[12:13]
	v_mov_b32_e32 v9, v12
	v_lshlrev_b64 v[8:9], 2, v[8:9]
	v_lshlrev_b64 v[4:5], 2, v[4:5]
	v_add_co_u32_e32 v4, vcc, v8, v4
	v_addc_co_u32_e32 v5, vcc, v9, v5, vcc
	s_lshl_b64 s[4:5], s[4:5], 4
	v_mov_b32_e32 v8, s25
	v_add_co_u32_e32 v4, vcc, s24, v4
	s_lshl_b64 s[8:9], s[6:7], 4
	v_mov_b32_e32 v13, 0
	v_addc_co_u32_e32 v5, vcc, v8, v5, vcc
	s_mov_b64 s[6:7], 0
	v_mov_b32_e32 v11, s5
	v_mov_b32_e32 v12, s9
	v_pk_mov_b32 v[8:9], v[0:1], v[0:1] op_sel:[0,1]
	v_mov_b32_e32 v1, v13
.LBB39_29:                              ; =>This Inner Loop Header: Depth=1
	global_load_dword v13, v[4:5], off
	global_load_dword v14, v[6:7], off
	v_add_co_u32_e32 v8, vcc, 4, v8
	v_addc_co_u32_e32 v9, vcc, 0, v9, vcc
	v_add_co_u32_e32 v6, vcc, s4, v6
	v_addc_co_u32_e32 v7, vcc, v7, v11, vcc
	;; [unrolled: 2-line block ×3, first 2 shown]
	v_cmp_le_i64_e32 vcc, s[12:13], v[8:9]
	s_or_b64 s[6:7], vcc, s[6:7]
	s_waitcnt vmcnt(0)
	v_fmac_f32_e32 v1, v13, v14
	s_andn2_b64 exec, exec, s[6:7]
	s_cbranch_execnz .LBB39_29
; %bb.30:
	s_or_b64 exec, exec, s[6:7]
.LBB39_31:
	s_or_b64 exec, exec, s[2:3]
	v_lshlrev_b32_e32 v4, 2, v0
	v_lshl_or_b32 v4, v10, 4, v4
	v_cmp_gt_u32_e32 vcc, 2, v0
	ds_write_b32 v4, v1
	s_waitcnt lgkmcnt(0)
	s_barrier
	s_and_saveexec_b64 s[2:3], vcc
	s_cbranch_execz .LBB39_33
; %bb.32:
	ds_read2_b32 v[6:7], v4 offset1:2
	s_waitcnt lgkmcnt(0)
	v_add_f32_e32 v1, v7, v6
	ds_write_b32 v4, v1
.LBB39_33:
	s_or_b64 exec, exec, s[2:3]
	v_cmp_eq_u32_e32 vcc, 0, v0
	v_lshlrev_b32_e32 v0, 4, v10
	s_waitcnt lgkmcnt(0)
	s_barrier
	s_and_saveexec_b64 s[2:3], vcc
	s_cbranch_execz .LBB39_35
; %bb.34:
	ds_read_b32 v1, v0 offset:4
	ds_read_b32 v5, v4
	s_waitcnt lgkmcnt(0)
	v_add_f32_e32 v1, v1, v5
	ds_write_b32 v4, v1
.LBB39_35:
	s_or_b64 exec, exec, s[2:3]
	s_waitcnt lgkmcnt(0)
	s_barrier
	s_and_b64 exec, exec, vcc
	s_cbranch_execz .LBB39_37
; %bb.36:
	v_lshlrev_b64 v[2:3], 2, v[2:3]
	v_mov_b32_e32 v1, s1
	v_add_co_u32_e32 v2, vcc, s0, v2
	v_addc_co_u32_e32 v3, vcc, v1, v3, vcc
	global_load_dword v1, v[2:3], off
	ds_read_b32 v0, v0
	s_waitcnt lgkmcnt(0)
	v_mul_f32_e32 v0, s16, v0
	s_waitcnt vmcnt(0)
	v_fmac_f32_e32 v0, s10, v1
	global_store_dword v[2:3], v0, off
.LBB39_37:
	s_endpgm
	.section	.rodata,"a",@progbits
	.p2align	6, 0x0
	.amdhsa_kernel _ZN9rocsparseL16sddmm_ell_kernelILi512ELi4EfllfffEEv20rocsparse_operation_S1_16rocsparse_order_S2_T3_S3_S3_T2_NS_24const_host_device_scalarIT1_EEPKT4_lPKT5_lS7_PT6_PKS3_21rocsparse_index_base_b
		.amdhsa_group_segment_fixed_size 2048
		.amdhsa_private_segment_fixed_size 0
		.amdhsa_kernarg_size 120
		.amdhsa_user_sgpr_count 6
		.amdhsa_user_sgpr_private_segment_buffer 1
		.amdhsa_user_sgpr_dispatch_ptr 0
		.amdhsa_user_sgpr_queue_ptr 0
		.amdhsa_user_sgpr_kernarg_segment_ptr 1
		.amdhsa_user_sgpr_dispatch_id 0
		.amdhsa_user_sgpr_flat_scratch_init 0
		.amdhsa_user_sgpr_kernarg_preload_length 0
		.amdhsa_user_sgpr_kernarg_preload_offset 0
		.amdhsa_user_sgpr_private_segment_size 0
		.amdhsa_uses_dynamic_stack 0
		.amdhsa_system_sgpr_private_segment_wavefront_offset 0
		.amdhsa_system_sgpr_workgroup_id_x 1
		.amdhsa_system_sgpr_workgroup_id_y 0
		.amdhsa_system_sgpr_workgroup_id_z 0
		.amdhsa_system_sgpr_workgroup_info 0
		.amdhsa_system_vgpr_workitem_id 0
		.amdhsa_next_free_vgpr 15
		.amdhsa_next_free_sgpr 28
		.amdhsa_accum_offset 16
		.amdhsa_reserve_vcc 1
		.amdhsa_reserve_flat_scratch 0
		.amdhsa_float_round_mode_32 0
		.amdhsa_float_round_mode_16_64 0
		.amdhsa_float_denorm_mode_32 3
		.amdhsa_float_denorm_mode_16_64 3
		.amdhsa_dx10_clamp 1
		.amdhsa_ieee_mode 1
		.amdhsa_fp16_overflow 0
		.amdhsa_tg_split 0
		.amdhsa_exception_fp_ieee_invalid_op 0
		.amdhsa_exception_fp_denorm_src 0
		.amdhsa_exception_fp_ieee_div_zero 0
		.amdhsa_exception_fp_ieee_overflow 0
		.amdhsa_exception_fp_ieee_underflow 0
		.amdhsa_exception_fp_ieee_inexact 0
		.amdhsa_exception_int_div_zero 0
	.end_amdhsa_kernel
	.section	.text._ZN9rocsparseL16sddmm_ell_kernelILi512ELi4EfllfffEEv20rocsparse_operation_S1_16rocsparse_order_S2_T3_S3_S3_T2_NS_24const_host_device_scalarIT1_EEPKT4_lPKT5_lS7_PT6_PKS3_21rocsparse_index_base_b,"axG",@progbits,_ZN9rocsparseL16sddmm_ell_kernelILi512ELi4EfllfffEEv20rocsparse_operation_S1_16rocsparse_order_S2_T3_S3_S3_T2_NS_24const_host_device_scalarIT1_EEPKT4_lPKT5_lS7_PT6_PKS3_21rocsparse_index_base_b,comdat
.Lfunc_end39:
	.size	_ZN9rocsparseL16sddmm_ell_kernelILi512ELi4EfllfffEEv20rocsparse_operation_S1_16rocsparse_order_S2_T3_S3_S3_T2_NS_24const_host_device_scalarIT1_EEPKT4_lPKT5_lS7_PT6_PKS3_21rocsparse_index_base_b, .Lfunc_end39-_ZN9rocsparseL16sddmm_ell_kernelILi512ELi4EfllfffEEv20rocsparse_operation_S1_16rocsparse_order_S2_T3_S3_S3_T2_NS_24const_host_device_scalarIT1_EEPKT4_lPKT5_lS7_PT6_PKS3_21rocsparse_index_base_b
                                        ; -- End function
	.section	.AMDGPU.csdata,"",@progbits
; Kernel info:
; codeLenInByte = 1804
; NumSgprs: 32
; NumVgprs: 15
; NumAgprs: 0
; TotalNumVgprs: 15
; ScratchSize: 0
; MemoryBound: 0
; FloatMode: 240
; IeeeMode: 1
; LDSByteSize: 2048 bytes/workgroup (compile time only)
; SGPRBlocks: 3
; VGPRBlocks: 1
; NumSGPRsForWavesPerEU: 32
; NumVGPRsForWavesPerEU: 15
; AccumOffset: 16
; Occupancy: 8
; WaveLimiterHint : 0
; COMPUTE_PGM_RSRC2:SCRATCH_EN: 0
; COMPUTE_PGM_RSRC2:USER_SGPR: 6
; COMPUTE_PGM_RSRC2:TRAP_HANDLER: 0
; COMPUTE_PGM_RSRC2:TGID_X_EN: 1
; COMPUTE_PGM_RSRC2:TGID_Y_EN: 0
; COMPUTE_PGM_RSRC2:TGID_Z_EN: 0
; COMPUTE_PGM_RSRC2:TIDIG_COMP_CNT: 0
; COMPUTE_PGM_RSRC3_GFX90A:ACCUM_OFFSET: 3
; COMPUTE_PGM_RSRC3_GFX90A:TG_SPLIT: 0
	.section	.text._ZN9rocsparseL16sddmm_ell_kernelILi512ELi2EfllfffEEv20rocsparse_operation_S1_16rocsparse_order_S2_T3_S3_S3_T2_NS_24const_host_device_scalarIT1_EEPKT4_lPKT5_lS7_PT6_PKS3_21rocsparse_index_base_b,"axG",@progbits,_ZN9rocsparseL16sddmm_ell_kernelILi512ELi2EfllfffEEv20rocsparse_operation_S1_16rocsparse_order_S2_T3_S3_S3_T2_NS_24const_host_device_scalarIT1_EEPKT4_lPKT5_lS7_PT6_PKS3_21rocsparse_index_base_b,comdat
	.globl	_ZN9rocsparseL16sddmm_ell_kernelILi512ELi2EfllfffEEv20rocsparse_operation_S1_16rocsparse_order_S2_T3_S3_S3_T2_NS_24const_host_device_scalarIT1_EEPKT4_lPKT5_lS7_PT6_PKS3_21rocsparse_index_base_b ; -- Begin function _ZN9rocsparseL16sddmm_ell_kernelILi512ELi2EfllfffEEv20rocsparse_operation_S1_16rocsparse_order_S2_T3_S3_S3_T2_NS_24const_host_device_scalarIT1_EEPKT4_lPKT5_lS7_PT6_PKS3_21rocsparse_index_base_b
	.p2align	8
	.type	_ZN9rocsparseL16sddmm_ell_kernelILi512ELi2EfllfffEEv20rocsparse_operation_S1_16rocsparse_order_S2_T3_S3_S3_T2_NS_24const_host_device_scalarIT1_EEPKT4_lPKT5_lS7_PT6_PKS3_21rocsparse_index_base_b,@function
_ZN9rocsparseL16sddmm_ell_kernelILi512ELi2EfllfffEEv20rocsparse_operation_S1_16rocsparse_order_S2_T3_S3_S3_T2_NS_24const_host_device_scalarIT1_EEPKT4_lPKT5_lS7_PT6_PKS3_21rocsparse_index_base_b: ; @_ZN9rocsparseL16sddmm_ell_kernelILi512ELi2EfllfffEEv20rocsparse_operation_S1_16rocsparse_order_S2_T3_S3_S3_T2_NS_24const_host_device_scalarIT1_EEPKT4_lPKT5_lS7_PT6_PKS3_21rocsparse_index_base_b
; %bb.0:
	s_load_dwordx2 s[18:19], s[4:5], 0x70
	s_load_dwordx2 s[16:17], s[4:5], 0x30
	s_load_dwordx4 s[8:11], s[4:5], 0x50
	s_waitcnt lgkmcnt(0)
	s_bitcmp1_b32 s19, 0
	s_cselect_b64 s[2:3], -1, 0
	s_xor_b64 s[0:1], s[2:3], -1
	s_and_b64 vcc, exec, s[2:3]
	s_cbranch_vccnz .LBB40_2
; %bb.1:
	s_load_dword s16, s[16:17], 0x0
.LBB40_2:
	s_andn2_b64 vcc, exec, s[0:1]
	s_cbranch_vccnz .LBB40_4
; %bb.3:
	s_load_dword s10, s[10:11], 0x0
.LBB40_4:
	s_waitcnt lgkmcnt(0)
	v_cmp_eq_f32_e64 s[0:1], s16, 0
	v_cmp_eq_f32_e64 s[2:3], s10, 1.0
	s_and_b64 s[0:1], s[0:1], s[2:3]
	s_and_b64 vcc, exec, s[0:1]
	s_cbranch_vccnz .LBB40_35
; %bb.5:
	s_load_dwordx4 s[12:15], s[4:5], 0x20
	v_lshrrev_b32_e32 v10, 1, v0
	v_lshl_or_b32 v2, s6, 8, v10
	v_mov_b32_e32 v3, 0
	s_waitcnt lgkmcnt(0)
	v_cmp_gt_i64_e32 vcc, s[14:15], v[2:3]
	s_and_saveexec_b64 s[0:1], vcc
	s_cbranch_execz .LBB40_35
; %bb.6:
	s_load_dwordx2 s[14:15], s[4:5], 0x10
	s_load_dwordx2 s[6:7], s[4:5], 0x68
	s_mov_b32 s0, 0
                                        ; implicit-def: $vgpr8_vgpr9
	s_waitcnt lgkmcnt(0)
	s_mov_b32 s1, s15
	s_cmp_lg_u64 s[0:1], 0
	s_cselect_b64 s[0:1], -1, 0
	s_and_saveexec_b64 s[2:3], s[0:1]
	s_xor_b64 s[20:21], exec, s[2:3]
	s_cbranch_execz .LBB40_8
; %bb.7:
	s_ashr_i32 s0, s15, 31
	s_add_u32 s2, s14, s0
	s_mov_b32 s1, s0
	s_addc_u32 s3, s15, s0
	s_xor_b64 s[22:23], s[2:3], s[0:1]
	v_cvt_f32_u32_e32 v1, s22
	v_cvt_f32_u32_e32 v4, s23
	s_sub_u32 s0, 0, s22
	s_subb_u32 s1, 0, s23
	v_madmk_f32 v1, v4, 0x4f800000, v1
	v_rcp_f32_e32 v1, v1
	v_mul_f32_e32 v1, 0x5f7ffffc, v1
	v_mul_f32_e32 v4, 0x2f800000, v1
	v_trunc_f32_e32 v4, v4
	v_madmk_f32 v1, v4, 0xcf800000, v1
	v_cvt_u32_f32_e32 v4, v4
	v_cvt_u32_f32_e32 v1, v1
	v_mul_lo_u32 v5, s0, v4
	v_mul_hi_u32 v7, s0, v1
	v_mul_lo_u32 v6, s1, v1
	v_add_u32_e32 v5, v7, v5
	v_mul_lo_u32 v8, s0, v1
	v_add_u32_e32 v5, v5, v6
	v_mul_lo_u32 v7, v1, v5
	v_mul_hi_u32 v9, v1, v8
	v_mul_hi_u32 v6, v1, v5
	v_add_co_u32_e32 v7, vcc, v9, v7
	v_addc_co_u32_e32 v6, vcc, 0, v6, vcc
	v_mul_hi_u32 v11, v4, v8
	v_mul_lo_u32 v8, v4, v8
	v_add_co_u32_e32 v7, vcc, v7, v8
	v_mul_hi_u32 v9, v4, v5
	v_addc_co_u32_e32 v6, vcc, v6, v11, vcc
	v_addc_co_u32_e32 v7, vcc, 0, v9, vcc
	v_mul_lo_u32 v5, v4, v5
	v_add_co_u32_e32 v5, vcc, v6, v5
	v_addc_co_u32_e32 v6, vcc, 0, v7, vcc
	v_add_co_u32_e32 v1, vcc, v1, v5
	v_addc_co_u32_e32 v4, vcc, v4, v6, vcc
	v_mul_lo_u32 v5, s0, v4
	v_mul_hi_u32 v6, s0, v1
	v_add_u32_e32 v5, v6, v5
	v_mul_lo_u32 v6, s1, v1
	v_add_u32_e32 v5, v5, v6
	v_mul_lo_u32 v7, s0, v1
	v_mul_hi_u32 v8, v4, v7
	v_mul_lo_u32 v9, v4, v7
	v_mul_lo_u32 v12, v1, v5
	v_mul_hi_u32 v7, v1, v7
	v_mul_hi_u32 v11, v1, v5
	v_add_co_u32_e32 v7, vcc, v7, v12
	v_addc_co_u32_e32 v11, vcc, 0, v11, vcc
	v_add_co_u32_e32 v7, vcc, v7, v9
	v_mul_hi_u32 v6, v4, v5
	v_addc_co_u32_e32 v7, vcc, v11, v8, vcc
	v_addc_co_u32_e32 v6, vcc, 0, v6, vcc
	v_mul_lo_u32 v5, v4, v5
	v_add_co_u32_e32 v5, vcc, v7, v5
	v_addc_co_u32_e32 v6, vcc, 0, v6, vcc
	v_add_co_u32_e32 v1, vcc, v1, v5
	v_addc_co_u32_e32 v6, vcc, v4, v6, vcc
	v_mad_u64_u32 v[4:5], s[0:1], v2, v6, 0
	v_mul_hi_u32 v7, v2, v1
	v_add_co_u32_e32 v8, vcc, v7, v4
	v_addc_co_u32_e32 v9, vcc, 0, v5, vcc
	v_mad_u64_u32 v[4:5], s[0:1], 0, v6, 0
	v_mad_u64_u32 v[6:7], s[0:1], 0, v1, 0
	v_add_co_u32_e32 v1, vcc, v8, v6
	v_addc_co_u32_e32 v1, vcc, v9, v7, vcc
	v_addc_co_u32_e32 v5, vcc, 0, v5, vcc
	v_add_co_u32_e32 v1, vcc, v1, v4
	v_addc_co_u32_e32 v4, vcc, 0, v5, vcc
	v_mul_lo_u32 v6, s23, v1
	v_mul_lo_u32 v7, s22, v4
	v_mad_u64_u32 v[4:5], s[0:1], s22, v1, 0
	v_add3_u32 v1, v5, v7, v6
	v_sub_u32_e32 v5, 0, v1
	v_mov_b32_e32 v6, s23
	v_sub_co_u32_e32 v4, vcc, v2, v4
	v_subb_co_u32_e64 v5, s[0:1], v5, v6, vcc
	v_subrev_co_u32_e64 v7, s[0:1], s22, v4
	v_subbrev_co_u32_e64 v8, s[2:3], 0, v5, s[0:1]
	v_cmp_le_u32_e64 s[2:3], s23, v8
	v_cndmask_b32_e64 v9, 0, -1, s[2:3]
	v_cmp_le_u32_e64 s[2:3], s22, v7
	v_subb_co_u32_e64 v5, s[0:1], v5, v6, s[0:1]
	v_cndmask_b32_e64 v11, 0, -1, s[2:3]
	v_cmp_eq_u32_e64 s[2:3], s23, v8
	v_subrev_co_u32_e64 v6, s[0:1], s22, v7
	v_cndmask_b32_e64 v9, v9, v11, s[2:3]
	v_subbrev_co_u32_e64 v5, s[0:1], 0, v5, s[0:1]
	v_subb_co_u32_e32 v1, vcc, 0, v1, vcc
	v_cmp_ne_u32_e64 s[0:1], 0, v9
	v_cmp_le_u32_e32 vcc, s23, v1
	v_cndmask_b32_e64 v5, v8, v5, s[0:1]
	v_cndmask_b32_e64 v8, 0, -1, vcc
	v_cmp_le_u32_e32 vcc, s22, v4
	v_cndmask_b32_e64 v9, 0, -1, vcc
	v_cmp_eq_u32_e32 vcc, s23, v1
	v_cndmask_b32_e32 v8, v8, v9, vcc
	v_cmp_ne_u32_e32 vcc, 0, v8
	v_cndmask_b32_e32 v1, v1, v5, vcc
	v_cndmask_b32_e64 v5, v7, v6, s[0:1]
	v_cndmask_b32_e32 v4, v4, v5, vcc
	v_subrev_co_u32_e32 v8, vcc, 0, v4
	v_subbrev_co_u32_e32 v9, vcc, 0, v1, vcc
.LBB40_8:
	s_andn2_saveexec_b64 s[0:1], s[20:21]
	s_cbranch_execz .LBB40_10
; %bb.9:
	v_cvt_f32_u32_e32 v1, s14
	s_sub_i32 s2, 0, s14
	v_mov_b32_e32 v9, 0
	v_rcp_iflag_f32_e32 v1, v1
	v_mul_f32_e32 v1, 0x4f7ffffe, v1
	v_cvt_u32_f32_e32 v1, v1
	v_mul_lo_u32 v4, s2, v1
	v_mul_hi_u32 v4, v1, v4
	v_add_u32_e32 v1, v1, v4
	v_mul_hi_u32 v1, v2, v1
	v_mul_lo_u32 v1, v1, s14
	v_sub_u32_e32 v1, v2, v1
	v_subrev_u32_e32 v4, s14, v1
	v_cmp_le_u32_e32 vcc, s14, v1
	v_cndmask_b32_e32 v1, v1, v4, vcc
	v_subrev_u32_e32 v4, s14, v1
	v_cmp_le_u32_e32 vcc, s14, v1
	v_cndmask_b32_e32 v8, v1, v4, vcc
.LBB40_10:
	s_or_b64 exec, exec, s[0:1]
	v_lshlrev_b64 v[4:5], 3, v[2:3]
	v_mov_b32_e32 v1, s7
	v_add_co_u32_e32 v4, vcc, s6, v4
	v_addc_co_u32_e32 v5, vcc, v1, v5, vcc
	global_load_dwordx2 v[4:5], v[4:5], off
	s_mov_b64 s[22:23], -1
	s_waitcnt vmcnt(0)
	v_subrev_co_u32_e32 v6, vcc, s18, v4
	v_subbrev_co_u32_e32 v7, vcc, 0, v5, vcc
	v_cmp_lt_i64_e32 vcc, -1, v[6:7]
	s_and_b64 exec, exec, vcc
	s_cbranch_execz .LBB40_35
; %bb.11:
	s_load_dwordx4 s[0:3], s[4:5], 0x0
	s_load_dwordx2 s[6:7], s[4:5], 0x40
	s_waitcnt lgkmcnt(0)
	s_cmp_eq_u32 s2, 1
	s_cselect_b64 s[14:15], -1, 0
	s_cmpk_eq_i32 s0, 0x6f
	s_cselect_b64 s[18:19], -1, 0
	s_cmpk_lg_i32 s0, 0x6f
	s_cselect_b64 s[20:21], -1, 0
	s_cmp_lg_u32 s2, 1
	s_cbranch_scc0 .LBB40_15
; %bb.12:
	s_andn2_b64 vcc, exec, s[18:19]
	v_pk_mov_b32 v[4:5], v[8:9], v[8:9] op_sel:[0,1]
	s_cbranch_vccnz .LBB40_14
; %bb.13:
	v_mul_lo_u32 v1, v9, s6
	v_mul_lo_u32 v11, v8, s7
	v_mad_u64_u32 v[4:5], s[22:23], v8, s6, 0
	v_add3_u32 v5, v5, v11, v1
.LBB40_14:
	s_cbranch_execz .LBB40_16
	s_branch .LBB40_19
.LBB40_15:
                                        ; implicit-def: $vgpr4_vgpr5
	s_andn2_b64 vcc, exec, s[22:23]
	s_cbranch_vccnz .LBB40_19
.LBB40_16:
	s_andn2_b64 vcc, exec, s[20:21]
	s_cbranch_vccnz .LBB40_18
; %bb.17:
	v_mul_lo_u32 v1, v9, s6
	v_mul_lo_u32 v4, v8, s7
	v_mad_u64_u32 v[8:9], s[20:21], v8, s6, 0
	v_add3_u32 v9, v9, v4, v1
.LBB40_18:
	v_pk_mov_b32 v[4:5], v[8:9], v[8:9] op_sel:[0,1]
.LBB40_19:
	s_cmp_eq_u32 s3, 1
	s_cselect_b64 s[20:21], -1, 0
	s_cmpk_eq_i32 s1, 0x6f
	s_cselect_b64 s[22:23], -1, 0
	s_cmpk_lg_i32 s1, 0x6f
	s_cselect_b64 s[0:1], -1, 0
	s_cmp_lg_u32 s3, 1
	s_cbranch_scc0 .LBB40_23
; %bb.20:
	s_andn2_b64 vcc, exec, s[0:1]
	v_pk_mov_b32 v[8:9], v[6:7], v[6:7] op_sel:[0,1]
	s_cbranch_vccnz .LBB40_22
; %bb.21:
	v_mul_lo_u32 v1, v7, s8
	v_mul_lo_u32 v11, v6, s9
	v_mad_u64_u32 v[8:9], s[0:1], v6, s8, 0
	v_add3_u32 v9, v9, v11, v1
.LBB40_22:
	s_cbranch_execz .LBB40_24
	s_branch .LBB40_27
.LBB40_23:
                                        ; implicit-def: $vgpr8_vgpr9
.LBB40_24:
	s_andn2_b64 vcc, exec, s[22:23]
	s_cbranch_vccnz .LBB40_26
; %bb.25:
	v_mul_lo_u32 v1, v7, s8
	v_mul_lo_u32 v8, v6, s9
	v_mad_u64_u32 v[6:7], s[0:1], v6, s8, 0
	v_add3_u32 v7, v7, v8, v1
.LBB40_26:
	v_pk_mov_b32 v[8:9], v[6:7], v[6:7] op_sel:[0,1]
.LBB40_27:
	s_load_dwordx2 s[0:1], s[4:5], 0x60
	v_and_b32_e32 v0, 1, v0
	v_mov_b32_e32 v1, 0
	v_cmp_gt_i64_e32 vcc, s[12:13], v[0:1]
	s_and_saveexec_b64 s[2:3], vcc
	s_cbranch_execz .LBB40_31
; %bb.28:
	s_load_dwordx2 s[24:25], s[4:5], 0x38
	s_load_dwordx2 s[26:27], s[4:5], 0x48
	s_xor_b64 s[4:5], s[18:19], s[14:15]
	s_and_b64 s[4:5], s[4:5], exec
	s_cselect_b32 s7, 0, s7
	s_cselect_b32 s6, 1, s6
	s_xor_b64 s[4:5], s[22:23], s[20:21]
	s_and_b64 s[4:5], s[4:5], exec
	s_cselect_b32 s5, s9, 0
	s_cselect_b32 s4, s8, 1
	v_mul_lo_u32 v7, s5, v0
	v_mul_lo_u32 v6, s4, v0
	v_lshlrev_b64 v[6:7], 2, v[6:7]
	v_lshlrev_b64 v[8:9], 2, v[8:9]
	v_add_co_u32_e32 v6, vcc, v6, v8
	v_addc_co_u32_e32 v7, vcc, v7, v9, vcc
	s_waitcnt lgkmcnt(0)
	v_mov_b32_e32 v8, s27
	v_add_co_u32_e32 v6, vcc, s26, v6
	v_addc_co_u32_e32 v7, vcc, v8, v7, vcc
	v_mul_lo_u32 v9, s7, v0
	v_mul_lo_u32 v8, s6, v0
	v_lshlrev_b64 v[8:9], 2, v[8:9]
	v_lshlrev_b64 v[4:5], 2, v[4:5]
	v_add_co_u32_e32 v4, vcc, v8, v4
	v_addc_co_u32_e32 v5, vcc, v9, v5, vcc
	s_lshl_b64 s[4:5], s[4:5], 3
	v_mov_b32_e32 v8, s25
	v_add_co_u32_e32 v4, vcc, s24, v4
	s_lshl_b64 s[8:9], s[6:7], 3
	v_mov_b32_e32 v13, 0
	v_addc_co_u32_e32 v5, vcc, v8, v5, vcc
	s_mov_b64 s[6:7], 0
	v_mov_b32_e32 v11, s5
	v_mov_b32_e32 v12, s9
	v_pk_mov_b32 v[8:9], v[0:1], v[0:1] op_sel:[0,1]
	v_mov_b32_e32 v1, v13
.LBB40_29:                              ; =>This Inner Loop Header: Depth=1
	global_load_dword v13, v[4:5], off
	global_load_dword v14, v[6:7], off
	v_add_co_u32_e32 v8, vcc, 2, v8
	v_addc_co_u32_e32 v9, vcc, 0, v9, vcc
	v_add_co_u32_e32 v6, vcc, s4, v6
	v_addc_co_u32_e32 v7, vcc, v7, v11, vcc
	;; [unrolled: 2-line block ×3, first 2 shown]
	v_cmp_le_i64_e32 vcc, s[12:13], v[8:9]
	s_or_b64 s[6:7], vcc, s[6:7]
	s_waitcnt vmcnt(0)
	v_fmac_f32_e32 v1, v13, v14
	s_andn2_b64 exec, exec, s[6:7]
	s_cbranch_execnz .LBB40_29
; %bb.30:
	s_or_b64 exec, exec, s[6:7]
.LBB40_31:
	s_or_b64 exec, exec, s[2:3]
	v_lshlrev_b32_e32 v4, 3, v10
	v_lshl_or_b32 v5, v0, 2, v4
	v_cmp_eq_u32_e32 vcc, 0, v0
	ds_write_b32 v5, v1
	s_waitcnt lgkmcnt(0)
	s_barrier
	s_and_saveexec_b64 s[2:3], vcc
	s_cbranch_execz .LBB40_33
; %bb.32:
	ds_read_b32 v0, v4 offset:4
	ds_read_b32 v1, v5
	s_waitcnt lgkmcnt(0)
	v_add_f32_e32 v0, v0, v1
	ds_write_b32 v5, v0
.LBB40_33:
	s_or_b64 exec, exec, s[2:3]
	s_waitcnt lgkmcnt(0)
	s_barrier
	s_and_b64 exec, exec, vcc
	s_cbranch_execz .LBB40_35
; %bb.34:
	v_lshlrev_b64 v[0:1], 2, v[2:3]
	v_mov_b32_e32 v2, s1
	v_add_co_u32_e32 v0, vcc, s0, v0
	v_addc_co_u32_e32 v1, vcc, v2, v1, vcc
	global_load_dword v2, v[0:1], off
	ds_read_b32 v3, v4
	s_waitcnt lgkmcnt(0)
	v_mul_f32_e32 v3, s16, v3
	s_waitcnt vmcnt(0)
	v_fmac_f32_e32 v3, s10, v2
	global_store_dword v[0:1], v3, off
.LBB40_35:
	s_endpgm
	.section	.rodata,"a",@progbits
	.p2align	6, 0x0
	.amdhsa_kernel _ZN9rocsparseL16sddmm_ell_kernelILi512ELi2EfllfffEEv20rocsparse_operation_S1_16rocsparse_order_S2_T3_S3_S3_T2_NS_24const_host_device_scalarIT1_EEPKT4_lPKT5_lS7_PT6_PKS3_21rocsparse_index_base_b
		.amdhsa_group_segment_fixed_size 2048
		.amdhsa_private_segment_fixed_size 0
		.amdhsa_kernarg_size 120
		.amdhsa_user_sgpr_count 6
		.amdhsa_user_sgpr_private_segment_buffer 1
		.amdhsa_user_sgpr_dispatch_ptr 0
		.amdhsa_user_sgpr_queue_ptr 0
		.amdhsa_user_sgpr_kernarg_segment_ptr 1
		.amdhsa_user_sgpr_dispatch_id 0
		.amdhsa_user_sgpr_flat_scratch_init 0
		.amdhsa_user_sgpr_kernarg_preload_length 0
		.amdhsa_user_sgpr_kernarg_preload_offset 0
		.amdhsa_user_sgpr_private_segment_size 0
		.amdhsa_uses_dynamic_stack 0
		.amdhsa_system_sgpr_private_segment_wavefront_offset 0
		.amdhsa_system_sgpr_workgroup_id_x 1
		.amdhsa_system_sgpr_workgroup_id_y 0
		.amdhsa_system_sgpr_workgroup_id_z 0
		.amdhsa_system_sgpr_workgroup_info 0
		.amdhsa_system_vgpr_workitem_id 0
		.amdhsa_next_free_vgpr 15
		.amdhsa_next_free_sgpr 28
		.amdhsa_accum_offset 16
		.amdhsa_reserve_vcc 1
		.amdhsa_reserve_flat_scratch 0
		.amdhsa_float_round_mode_32 0
		.amdhsa_float_round_mode_16_64 0
		.amdhsa_float_denorm_mode_32 3
		.amdhsa_float_denorm_mode_16_64 3
		.amdhsa_dx10_clamp 1
		.amdhsa_ieee_mode 1
		.amdhsa_fp16_overflow 0
		.amdhsa_tg_split 0
		.amdhsa_exception_fp_ieee_invalid_op 0
		.amdhsa_exception_fp_denorm_src 0
		.amdhsa_exception_fp_ieee_div_zero 0
		.amdhsa_exception_fp_ieee_overflow 0
		.amdhsa_exception_fp_ieee_underflow 0
		.amdhsa_exception_fp_ieee_inexact 0
		.amdhsa_exception_int_div_zero 0
	.end_amdhsa_kernel
	.section	.text._ZN9rocsparseL16sddmm_ell_kernelILi512ELi2EfllfffEEv20rocsparse_operation_S1_16rocsparse_order_S2_T3_S3_S3_T2_NS_24const_host_device_scalarIT1_EEPKT4_lPKT5_lS7_PT6_PKS3_21rocsparse_index_base_b,"axG",@progbits,_ZN9rocsparseL16sddmm_ell_kernelILi512ELi2EfllfffEEv20rocsparse_operation_S1_16rocsparse_order_S2_T3_S3_S3_T2_NS_24const_host_device_scalarIT1_EEPKT4_lPKT5_lS7_PT6_PKS3_21rocsparse_index_base_b,comdat
.Lfunc_end40:
	.size	_ZN9rocsparseL16sddmm_ell_kernelILi512ELi2EfllfffEEv20rocsparse_operation_S1_16rocsparse_order_S2_T3_S3_S3_T2_NS_24const_host_device_scalarIT1_EEPKT4_lPKT5_lS7_PT6_PKS3_21rocsparse_index_base_b, .Lfunc_end40-_ZN9rocsparseL16sddmm_ell_kernelILi512ELi2EfllfffEEv20rocsparse_operation_S1_16rocsparse_order_S2_T3_S3_S3_T2_NS_24const_host_device_scalarIT1_EEPKT4_lPKT5_lS7_PT6_PKS3_21rocsparse_index_base_b
                                        ; -- End function
	.section	.AMDGPU.csdata,"",@progbits
; Kernel info:
; codeLenInByte = 1736
; NumSgprs: 32
; NumVgprs: 15
; NumAgprs: 0
; TotalNumVgprs: 15
; ScratchSize: 0
; MemoryBound: 0
; FloatMode: 240
; IeeeMode: 1
; LDSByteSize: 2048 bytes/workgroup (compile time only)
; SGPRBlocks: 3
; VGPRBlocks: 1
; NumSGPRsForWavesPerEU: 32
; NumVGPRsForWavesPerEU: 15
; AccumOffset: 16
; Occupancy: 8
; WaveLimiterHint : 0
; COMPUTE_PGM_RSRC2:SCRATCH_EN: 0
; COMPUTE_PGM_RSRC2:USER_SGPR: 6
; COMPUTE_PGM_RSRC2:TRAP_HANDLER: 0
; COMPUTE_PGM_RSRC2:TGID_X_EN: 1
; COMPUTE_PGM_RSRC2:TGID_Y_EN: 0
; COMPUTE_PGM_RSRC2:TGID_Z_EN: 0
; COMPUTE_PGM_RSRC2:TIDIG_COMP_CNT: 0
; COMPUTE_PGM_RSRC3_GFX90A:ACCUM_OFFSET: 3
; COMPUTE_PGM_RSRC3_GFX90A:TG_SPLIT: 0
	.section	.text._ZN9rocsparseL16sddmm_ell_kernelILi512ELi1EfllfffEEv20rocsparse_operation_S1_16rocsparse_order_S2_T3_S3_S3_T2_NS_24const_host_device_scalarIT1_EEPKT4_lPKT5_lS7_PT6_PKS3_21rocsparse_index_base_b,"axG",@progbits,_ZN9rocsparseL16sddmm_ell_kernelILi512ELi1EfllfffEEv20rocsparse_operation_S1_16rocsparse_order_S2_T3_S3_S3_T2_NS_24const_host_device_scalarIT1_EEPKT4_lPKT5_lS7_PT6_PKS3_21rocsparse_index_base_b,comdat
	.globl	_ZN9rocsparseL16sddmm_ell_kernelILi512ELi1EfllfffEEv20rocsparse_operation_S1_16rocsparse_order_S2_T3_S3_S3_T2_NS_24const_host_device_scalarIT1_EEPKT4_lPKT5_lS7_PT6_PKS3_21rocsparse_index_base_b ; -- Begin function _ZN9rocsparseL16sddmm_ell_kernelILi512ELi1EfllfffEEv20rocsparse_operation_S1_16rocsparse_order_S2_T3_S3_S3_T2_NS_24const_host_device_scalarIT1_EEPKT4_lPKT5_lS7_PT6_PKS3_21rocsparse_index_base_b
	.p2align	8
	.type	_ZN9rocsparseL16sddmm_ell_kernelILi512ELi1EfllfffEEv20rocsparse_operation_S1_16rocsparse_order_S2_T3_S3_S3_T2_NS_24const_host_device_scalarIT1_EEPKT4_lPKT5_lS7_PT6_PKS3_21rocsparse_index_base_b,@function
_ZN9rocsparseL16sddmm_ell_kernelILi512ELi1EfllfffEEv20rocsparse_operation_S1_16rocsparse_order_S2_T3_S3_S3_T2_NS_24const_host_device_scalarIT1_EEPKT4_lPKT5_lS7_PT6_PKS3_21rocsparse_index_base_b: ; @_ZN9rocsparseL16sddmm_ell_kernelILi512ELi1EfllfffEEv20rocsparse_operation_S1_16rocsparse_order_S2_T3_S3_S3_T2_NS_24const_host_device_scalarIT1_EEPKT4_lPKT5_lS7_PT6_PKS3_21rocsparse_index_base_b
; %bb.0:
	s_load_dwordx2 s[18:19], s[4:5], 0x70
	s_load_dwordx2 s[16:17], s[4:5], 0x30
	s_load_dwordx4 s[8:11], s[4:5], 0x50
	s_waitcnt lgkmcnt(0)
	s_bitcmp1_b32 s19, 0
	s_cselect_b64 s[2:3], -1, 0
	s_xor_b64 s[0:1], s[2:3], -1
	s_and_b64 vcc, exec, s[2:3]
	s_cbranch_vccnz .LBB41_2
; %bb.1:
	s_load_dword s16, s[16:17], 0x0
.LBB41_2:
	s_andn2_b64 vcc, exec, s[0:1]
	s_cbranch_vccnz .LBB41_4
; %bb.3:
	s_load_dword s10, s[10:11], 0x0
.LBB41_4:
	s_waitcnt lgkmcnt(0)
	v_cmp_eq_f32_e64 s[0:1], s16, 0
	v_cmp_eq_f32_e64 s[2:3], s10, 1.0
	s_and_b64 s[0:1], s[0:1], s[2:3]
	s_and_b64 vcc, exec, s[0:1]
	s_cbranch_vccnz .LBB41_32
; %bb.5:
	s_load_dwordx4 s[12:15], s[4:5], 0x20
	v_lshl_or_b32 v2, s6, 9, v0
	v_mov_b32_e32 v3, 0
	s_waitcnt lgkmcnt(0)
	v_cmp_gt_i64_e32 vcc, s[14:15], v[2:3]
	s_and_saveexec_b64 s[0:1], vcc
	s_cbranch_execz .LBB41_32
; %bb.6:
	s_load_dwordx2 s[14:15], s[4:5], 0x10
	s_load_dwordx2 s[6:7], s[4:5], 0x68
	s_mov_b32 s0, 0
                                        ; implicit-def: $vgpr8_vgpr9
	s_waitcnt lgkmcnt(0)
	s_mov_b32 s1, s15
	s_cmp_lg_u64 s[0:1], 0
	s_cselect_b64 s[0:1], -1, 0
	s_and_saveexec_b64 s[2:3], s[0:1]
	s_xor_b64 s[20:21], exec, s[2:3]
	s_cbranch_execz .LBB41_8
; %bb.7:
	s_ashr_i32 s0, s15, 31
	s_add_u32 s2, s14, s0
	s_mov_b32 s1, s0
	s_addc_u32 s3, s15, s0
	s_xor_b64 s[22:23], s[2:3], s[0:1]
	v_cvt_f32_u32_e32 v1, s22
	v_cvt_f32_u32_e32 v4, s23
	s_sub_u32 s0, 0, s22
	s_subb_u32 s1, 0, s23
	v_madmk_f32 v1, v4, 0x4f800000, v1
	v_rcp_f32_e32 v1, v1
	v_mul_f32_e32 v1, 0x5f7ffffc, v1
	v_mul_f32_e32 v4, 0x2f800000, v1
	v_trunc_f32_e32 v4, v4
	v_madmk_f32 v1, v4, 0xcf800000, v1
	v_cvt_u32_f32_e32 v4, v4
	v_cvt_u32_f32_e32 v1, v1
	v_mul_lo_u32 v5, s0, v4
	v_mul_hi_u32 v7, s0, v1
	v_mul_lo_u32 v6, s1, v1
	v_add_u32_e32 v5, v7, v5
	v_mul_lo_u32 v8, s0, v1
	v_add_u32_e32 v5, v5, v6
	v_mul_lo_u32 v7, v1, v5
	v_mul_hi_u32 v9, v1, v8
	v_mul_hi_u32 v6, v1, v5
	v_add_co_u32_e32 v7, vcc, v9, v7
	v_addc_co_u32_e32 v6, vcc, 0, v6, vcc
	v_mul_hi_u32 v10, v4, v8
	v_mul_lo_u32 v8, v4, v8
	v_add_co_u32_e32 v7, vcc, v7, v8
	v_mul_hi_u32 v9, v4, v5
	v_addc_co_u32_e32 v6, vcc, v6, v10, vcc
	v_addc_co_u32_e32 v7, vcc, 0, v9, vcc
	v_mul_lo_u32 v5, v4, v5
	v_add_co_u32_e32 v5, vcc, v6, v5
	v_addc_co_u32_e32 v6, vcc, 0, v7, vcc
	v_add_co_u32_e32 v1, vcc, v1, v5
	v_addc_co_u32_e32 v4, vcc, v4, v6, vcc
	v_mul_lo_u32 v5, s0, v4
	v_mul_hi_u32 v6, s0, v1
	v_add_u32_e32 v5, v6, v5
	v_mul_lo_u32 v6, s1, v1
	v_add_u32_e32 v5, v5, v6
	v_mul_lo_u32 v7, s0, v1
	v_mul_hi_u32 v8, v4, v7
	v_mul_lo_u32 v9, v4, v7
	v_mul_lo_u32 v11, v1, v5
	v_mul_hi_u32 v7, v1, v7
	v_mul_hi_u32 v10, v1, v5
	v_add_co_u32_e32 v7, vcc, v7, v11
	v_addc_co_u32_e32 v10, vcc, 0, v10, vcc
	v_add_co_u32_e32 v7, vcc, v7, v9
	v_mul_hi_u32 v6, v4, v5
	v_addc_co_u32_e32 v7, vcc, v10, v8, vcc
	v_addc_co_u32_e32 v6, vcc, 0, v6, vcc
	v_mul_lo_u32 v5, v4, v5
	v_add_co_u32_e32 v5, vcc, v7, v5
	v_addc_co_u32_e32 v6, vcc, 0, v6, vcc
	v_add_co_u32_e32 v1, vcc, v1, v5
	v_addc_co_u32_e32 v6, vcc, v4, v6, vcc
	v_mad_u64_u32 v[4:5], s[0:1], v2, v6, 0
	v_mul_hi_u32 v7, v2, v1
	v_add_co_u32_e32 v8, vcc, v7, v4
	v_addc_co_u32_e32 v9, vcc, 0, v5, vcc
	v_mad_u64_u32 v[4:5], s[0:1], 0, v6, 0
	v_mad_u64_u32 v[6:7], s[0:1], 0, v1, 0
	v_add_co_u32_e32 v1, vcc, v8, v6
	v_addc_co_u32_e32 v1, vcc, v9, v7, vcc
	v_addc_co_u32_e32 v5, vcc, 0, v5, vcc
	v_add_co_u32_e32 v1, vcc, v1, v4
	v_addc_co_u32_e32 v4, vcc, 0, v5, vcc
	v_mul_lo_u32 v6, s23, v1
	v_mul_lo_u32 v7, s22, v4
	v_mad_u64_u32 v[4:5], s[0:1], s22, v1, 0
	v_add3_u32 v1, v5, v7, v6
	v_sub_u32_e32 v5, 0, v1
	v_mov_b32_e32 v6, s23
	v_sub_co_u32_e32 v4, vcc, v2, v4
	v_subb_co_u32_e64 v5, s[0:1], v5, v6, vcc
	v_subrev_co_u32_e64 v7, s[0:1], s22, v4
	v_subbrev_co_u32_e64 v8, s[2:3], 0, v5, s[0:1]
	v_cmp_le_u32_e64 s[2:3], s23, v8
	v_cndmask_b32_e64 v9, 0, -1, s[2:3]
	v_cmp_le_u32_e64 s[2:3], s22, v7
	v_subb_co_u32_e64 v5, s[0:1], v5, v6, s[0:1]
	v_cndmask_b32_e64 v10, 0, -1, s[2:3]
	v_cmp_eq_u32_e64 s[2:3], s23, v8
	v_subrev_co_u32_e64 v6, s[0:1], s22, v7
	v_cndmask_b32_e64 v9, v9, v10, s[2:3]
	v_subbrev_co_u32_e64 v5, s[0:1], 0, v5, s[0:1]
	v_subb_co_u32_e32 v1, vcc, 0, v1, vcc
	v_cmp_ne_u32_e64 s[0:1], 0, v9
	v_cmp_le_u32_e32 vcc, s23, v1
	v_cndmask_b32_e64 v5, v8, v5, s[0:1]
	v_cndmask_b32_e64 v8, 0, -1, vcc
	v_cmp_le_u32_e32 vcc, s22, v4
	v_cndmask_b32_e64 v9, 0, -1, vcc
	v_cmp_eq_u32_e32 vcc, s23, v1
	v_cndmask_b32_e32 v8, v8, v9, vcc
	v_cmp_ne_u32_e32 vcc, 0, v8
	v_cndmask_b32_e32 v1, v1, v5, vcc
	v_cndmask_b32_e64 v5, v7, v6, s[0:1]
	v_cndmask_b32_e32 v4, v4, v5, vcc
	v_subrev_co_u32_e32 v8, vcc, 0, v4
	v_subbrev_co_u32_e32 v9, vcc, 0, v1, vcc
.LBB41_8:
	s_andn2_saveexec_b64 s[0:1], s[20:21]
	s_cbranch_execz .LBB41_10
; %bb.9:
	v_cvt_f32_u32_e32 v1, s14
	s_sub_i32 s2, 0, s14
	v_mov_b32_e32 v9, 0
	v_rcp_iflag_f32_e32 v1, v1
	v_mul_f32_e32 v1, 0x4f7ffffe, v1
	v_cvt_u32_f32_e32 v1, v1
	v_mul_lo_u32 v4, s2, v1
	v_mul_hi_u32 v4, v1, v4
	v_add_u32_e32 v1, v1, v4
	v_mul_hi_u32 v1, v2, v1
	v_mul_lo_u32 v1, v1, s14
	v_sub_u32_e32 v1, v2, v1
	v_subrev_u32_e32 v4, s14, v1
	v_cmp_le_u32_e32 vcc, s14, v1
	v_cndmask_b32_e32 v1, v1, v4, vcc
	v_subrev_u32_e32 v4, s14, v1
	v_cmp_le_u32_e32 vcc, s14, v1
	v_cndmask_b32_e32 v8, v1, v4, vcc
.LBB41_10:
	s_or_b64 exec, exec, s[0:1]
	v_lshlrev_b64 v[4:5], 3, v[2:3]
	v_mov_b32_e32 v1, s7
	v_add_co_u32_e32 v4, vcc, s6, v4
	v_addc_co_u32_e32 v5, vcc, v1, v5, vcc
	global_load_dwordx2 v[4:5], v[4:5], off
	s_mov_b64 s[22:23], -1
	s_waitcnt vmcnt(0)
	v_subrev_co_u32_e32 v4, vcc, s18, v4
	v_subbrev_co_u32_e32 v5, vcc, 0, v5, vcc
	v_cmp_lt_i64_e32 vcc, -1, v[4:5]
	s_and_b64 exec, exec, vcc
	s_cbranch_execz .LBB41_32
; %bb.11:
	s_load_dwordx4 s[0:3], s[4:5], 0x0
	s_load_dwordx2 s[6:7], s[4:5], 0x40
	s_waitcnt lgkmcnt(0)
	s_cmp_eq_u32 s2, 1
	s_cselect_b64 s[14:15], -1, 0
	s_cmpk_eq_i32 s0, 0x6f
	s_cselect_b64 s[18:19], -1, 0
	s_cmpk_lg_i32 s0, 0x6f
	s_cselect_b64 s[20:21], -1, 0
	s_cmp_lg_u32 s2, 1
	s_cbranch_scc0 .LBB41_15
; %bb.12:
	s_andn2_b64 vcc, exec, s[18:19]
	v_pk_mov_b32 v[6:7], v[8:9], v[8:9] op_sel:[0,1]
	s_cbranch_vccnz .LBB41_14
; %bb.13:
	v_mul_lo_u32 v1, v9, s6
	v_mul_lo_u32 v10, v8, s7
	v_mad_u64_u32 v[6:7], s[22:23], v8, s6, 0
	v_add3_u32 v7, v7, v10, v1
.LBB41_14:
	s_cbranch_execz .LBB41_16
	s_branch .LBB41_19
.LBB41_15:
                                        ; implicit-def: $vgpr6_vgpr7
	s_andn2_b64 vcc, exec, s[22:23]
	s_cbranch_vccnz .LBB41_19
.LBB41_16:
	s_andn2_b64 vcc, exec, s[20:21]
	s_cbranch_vccnz .LBB41_18
; %bb.17:
	v_mul_lo_u32 v1, v9, s6
	v_mul_lo_u32 v6, v8, s7
	v_mad_u64_u32 v[8:9], s[20:21], v8, s6, 0
	v_add3_u32 v9, v9, v6, v1
.LBB41_18:
	v_pk_mov_b32 v[6:7], v[8:9], v[8:9] op_sel:[0,1]
.LBB41_19:
	s_cmp_eq_u32 s3, 1
	s_cselect_b64 s[20:21], -1, 0
	s_cmpk_eq_i32 s1, 0x6f
	s_cselect_b64 s[22:23], -1, 0
	s_cmpk_lg_i32 s1, 0x6f
	s_cselect_b64 s[0:1], -1, 0
	s_cmp_lg_u32 s3, 1
	s_cbranch_scc0 .LBB41_23
; %bb.20:
	s_andn2_b64 vcc, exec, s[0:1]
	v_pk_mov_b32 v[8:9], v[4:5], v[4:5] op_sel:[0,1]
	s_cbranch_vccnz .LBB41_22
; %bb.21:
	v_mul_lo_u32 v1, v5, s8
	v_mul_lo_u32 v10, v4, s9
	v_mad_u64_u32 v[8:9], s[0:1], v4, s8, 0
	v_add3_u32 v9, v9, v10, v1
.LBB41_22:
	s_cbranch_execz .LBB41_24
	s_branch .LBB41_27
.LBB41_23:
                                        ; implicit-def: $vgpr8_vgpr9
.LBB41_24:
	s_andn2_b64 vcc, exec, s[22:23]
	s_cbranch_vccnz .LBB41_26
; %bb.25:
	v_mul_lo_u32 v1, v5, s8
	v_mul_lo_u32 v8, v4, s9
	v_mad_u64_u32 v[4:5], s[0:1], v4, s8, 0
	v_add3_u32 v5, v5, v8, v1
.LBB41_26:
	v_pk_mov_b32 v[8:9], v[4:5], v[4:5] op_sel:[0,1]
.LBB41_27:
	s_load_dwordx2 s[0:1], s[4:5], 0x60
	v_cmp_lt_i64_e64 s[2:3], s[12:13], 1
	s_and_b64 vcc, exec, s[2:3]
	s_cbranch_vccnz .LBB41_30
; %bb.28:
	s_load_dwordx2 s[2:3], s[4:5], 0x48
	s_load_dwordx2 s[24:25], s[4:5], 0x38
	v_lshlrev_b64 v[4:5], 2, v[8:9]
	v_lshlrev_b64 v[6:7], 2, v[6:7]
	s_waitcnt lgkmcnt(0)
	v_mov_b32_e32 v1, s3
	v_add_co_u32_e32 v4, vcc, s2, v4
	s_xor_b64 s[2:3], s[18:19], s[14:15]
	s_and_b64 s[2:3], s[2:3], exec
	s_cselect_b32 s5, 0, s7
	s_cselect_b32 s4, 1, s6
	s_xor_b64 s[2:3], s[22:23], s[20:21]
	s_and_b64 s[2:3], s[2:3], exec
	v_addc_co_u32_e32 v5, vcc, v1, v5, vcc
	s_cselect_b32 s3, s9, 0
	s_cselect_b32 s2, s8, 1
	v_mov_b32_e32 v1, s25
	v_add_co_u32_e32 v6, vcc, s24, v6
	s_lshl_b64 s[2:3], s[2:3], 2
	s_lshl_b64 s[4:5], s[4:5], 2
	v_addc_co_u32_e32 v7, vcc, v1, v7, vcc
	v_mov_b32_e32 v1, 0
	v_mov_b32_e32 v8, s3
	;; [unrolled: 1-line block ×3, first 2 shown]
.LBB41_29:                              ; =>This Inner Loop Header: Depth=1
	global_load_dword v10, v[6:7], off
	global_load_dword v11, v[4:5], off
	v_add_co_u32_e32 v4, vcc, s2, v4
	s_add_u32 s12, s12, -1
	v_addc_co_u32_e32 v5, vcc, v5, v8, vcc
	v_add_co_u32_e32 v6, vcc, s4, v6
	s_addc_u32 s13, s13, -1
	v_addc_co_u32_e32 v7, vcc, v7, v9, vcc
	s_cmp_eq_u64 s[12:13], 0
	s_waitcnt vmcnt(0)
	v_fmac_f32_e32 v1, v10, v11
	s_cbranch_scc0 .LBB41_29
	s_branch .LBB41_31
.LBB41_30:
	v_mov_b32_e32 v1, 0
.LBB41_31:
	v_lshlrev_b32_e32 v4, 2, v0
	ds_write_b32 v4, v1
	v_lshlrev_b64 v[0:1], 2, v[2:3]
	s_waitcnt lgkmcnt(0)
	v_mov_b32_e32 v2, s1
	v_add_co_u32_e32 v0, vcc, s0, v0
	v_addc_co_u32_e32 v1, vcc, v2, v1, vcc
	s_barrier
	global_load_dword v2, v[0:1], off
	ds_read_b32 v3, v4
	s_waitcnt lgkmcnt(0)
	v_mul_f32_e32 v3, s16, v3
	s_waitcnt vmcnt(0)
	v_fmac_f32_e32 v3, s10, v2
	global_store_dword v[0:1], v3, off
.LBB41_32:
	s_endpgm
	.section	.rodata,"a",@progbits
	.p2align	6, 0x0
	.amdhsa_kernel _ZN9rocsparseL16sddmm_ell_kernelILi512ELi1EfllfffEEv20rocsparse_operation_S1_16rocsparse_order_S2_T3_S3_S3_T2_NS_24const_host_device_scalarIT1_EEPKT4_lPKT5_lS7_PT6_PKS3_21rocsparse_index_base_b
		.amdhsa_group_segment_fixed_size 2048
		.amdhsa_private_segment_fixed_size 0
		.amdhsa_kernarg_size 120
		.amdhsa_user_sgpr_count 6
		.amdhsa_user_sgpr_private_segment_buffer 1
		.amdhsa_user_sgpr_dispatch_ptr 0
		.amdhsa_user_sgpr_queue_ptr 0
		.amdhsa_user_sgpr_kernarg_segment_ptr 1
		.amdhsa_user_sgpr_dispatch_id 0
		.amdhsa_user_sgpr_flat_scratch_init 0
		.amdhsa_user_sgpr_kernarg_preload_length 0
		.amdhsa_user_sgpr_kernarg_preload_offset 0
		.amdhsa_user_sgpr_private_segment_size 0
		.amdhsa_uses_dynamic_stack 0
		.amdhsa_system_sgpr_private_segment_wavefront_offset 0
		.amdhsa_system_sgpr_workgroup_id_x 1
		.amdhsa_system_sgpr_workgroup_id_y 0
		.amdhsa_system_sgpr_workgroup_id_z 0
		.amdhsa_system_sgpr_workgroup_info 0
		.amdhsa_system_vgpr_workitem_id 0
		.amdhsa_next_free_vgpr 12
		.amdhsa_next_free_sgpr 26
		.amdhsa_accum_offset 12
		.amdhsa_reserve_vcc 1
		.amdhsa_reserve_flat_scratch 0
		.amdhsa_float_round_mode_32 0
		.amdhsa_float_round_mode_16_64 0
		.amdhsa_float_denorm_mode_32 3
		.amdhsa_float_denorm_mode_16_64 3
		.amdhsa_dx10_clamp 1
		.amdhsa_ieee_mode 1
		.amdhsa_fp16_overflow 0
		.amdhsa_tg_split 0
		.amdhsa_exception_fp_ieee_invalid_op 0
		.amdhsa_exception_fp_denorm_src 0
		.amdhsa_exception_fp_ieee_div_zero 0
		.amdhsa_exception_fp_ieee_overflow 0
		.amdhsa_exception_fp_ieee_underflow 0
		.amdhsa_exception_fp_ieee_inexact 0
		.amdhsa_exception_int_div_zero 0
	.end_amdhsa_kernel
	.section	.text._ZN9rocsparseL16sddmm_ell_kernelILi512ELi1EfllfffEEv20rocsparse_operation_S1_16rocsparse_order_S2_T3_S3_S3_T2_NS_24const_host_device_scalarIT1_EEPKT4_lPKT5_lS7_PT6_PKS3_21rocsparse_index_base_b,"axG",@progbits,_ZN9rocsparseL16sddmm_ell_kernelILi512ELi1EfllfffEEv20rocsparse_operation_S1_16rocsparse_order_S2_T3_S3_S3_T2_NS_24const_host_device_scalarIT1_EEPKT4_lPKT5_lS7_PT6_PKS3_21rocsparse_index_base_b,comdat
.Lfunc_end41:
	.size	_ZN9rocsparseL16sddmm_ell_kernelILi512ELi1EfllfffEEv20rocsparse_operation_S1_16rocsparse_order_S2_T3_S3_S3_T2_NS_24const_host_device_scalarIT1_EEPKT4_lPKT5_lS7_PT6_PKS3_21rocsparse_index_base_b, .Lfunc_end41-_ZN9rocsparseL16sddmm_ell_kernelILi512ELi1EfllfffEEv20rocsparse_operation_S1_16rocsparse_order_S2_T3_S3_S3_T2_NS_24const_host_device_scalarIT1_EEPKT4_lPKT5_lS7_PT6_PKS3_21rocsparse_index_base_b
                                        ; -- End function
	.section	.AMDGPU.csdata,"",@progbits
; Kernel info:
; codeLenInByte = 1568
; NumSgprs: 30
; NumVgprs: 12
; NumAgprs: 0
; TotalNumVgprs: 12
; ScratchSize: 0
; MemoryBound: 0
; FloatMode: 240
; IeeeMode: 1
; LDSByteSize: 2048 bytes/workgroup (compile time only)
; SGPRBlocks: 3
; VGPRBlocks: 1
; NumSGPRsForWavesPerEU: 30
; NumVGPRsForWavesPerEU: 12
; AccumOffset: 12
; Occupancy: 8
; WaveLimiterHint : 0
; COMPUTE_PGM_RSRC2:SCRATCH_EN: 0
; COMPUTE_PGM_RSRC2:USER_SGPR: 6
; COMPUTE_PGM_RSRC2:TRAP_HANDLER: 0
; COMPUTE_PGM_RSRC2:TGID_X_EN: 1
; COMPUTE_PGM_RSRC2:TGID_Y_EN: 0
; COMPUTE_PGM_RSRC2:TGID_Z_EN: 0
; COMPUTE_PGM_RSRC2:TIDIG_COMP_CNT: 0
; COMPUTE_PGM_RSRC3_GFX90A:ACCUM_OFFSET: 2
; COMPUTE_PGM_RSRC3_GFX90A:TG_SPLIT: 0
	.section	.text._ZN9rocsparseL23sddmm_ell_sample_kernelILi16ELi32EdldEEvT2_S1_PKT3_lS1_PS2_PKS1_21rocsparse_index_base_,"axG",@progbits,_ZN9rocsparseL23sddmm_ell_sample_kernelILi16ELi32EdldEEvT2_S1_PKT3_lS1_PS2_PKS1_21rocsparse_index_base_,comdat
	.globl	_ZN9rocsparseL23sddmm_ell_sample_kernelILi16ELi32EdldEEvT2_S1_PKT3_lS1_PS2_PKS1_21rocsparse_index_base_ ; -- Begin function _ZN9rocsparseL23sddmm_ell_sample_kernelILi16ELi32EdldEEvT2_S1_PKT3_lS1_PS2_PKS1_21rocsparse_index_base_
	.p2align	8
	.type	_ZN9rocsparseL23sddmm_ell_sample_kernelILi16ELi32EdldEEvT2_S1_PKT3_lS1_PS2_PKS1_21rocsparse_index_base_,@function
_ZN9rocsparseL23sddmm_ell_sample_kernelILi16ELi32EdldEEvT2_S1_PKT3_lS1_PS2_PKS1_21rocsparse_index_base_: ; @_ZN9rocsparseL23sddmm_ell_sample_kernelILi16ELi32EdldEEvT2_S1_PKT3_lS1_PS2_PKS1_21rocsparse_index_base_
; %bb.0:
	s_load_dwordx4 s[0:3], s[4:5], 0x18
	v_lshrrev_b32_e32 v1, 5, v0
	v_lshl_or_b32 v2, s6, 4, v1
	v_mov_b32_e32 v1, 0
	v_mov_b32_e32 v3, v1
	s_waitcnt lgkmcnt(0)
	v_cmp_gt_i64_e32 vcc, s[2:3], v[2:3]
	s_and_saveexec_b64 s[2:3], vcc
	s_cbranch_execz .LBB42_6
; %bb.1:
	s_load_dwordx4 s[8:11], s[4:5], 0x0
	v_and_b32_e32 v0, 31, v0
	s_waitcnt lgkmcnt(0)
	v_cmp_gt_i64_e32 vcc, s[8:9], v[0:1]
	s_and_b64 exec, exec, vcc
	s_cbranch_execz .LBB42_6
; %bb.2:
	v_mad_u64_u32 v[4:5], s[2:3], v2, s8, v[0:1]
	s_load_dwordx2 s[16:17], s[4:5], 0x10
	s_load_dwordx4 s[12:15], s[4:5], 0x28
	s_load_dword s6, s[4:5], 0x38
	v_mov_b32_e32 v6, v5
	v_mad_u64_u32 v[2:3], s[2:3], v2, s9, v[6:7]
	v_mov_b32_e32 v5, v2
	v_lshlrev_b64 v[4:5], 3, v[4:5]
	s_waitcnt lgkmcnt(0)
	v_mov_b32_e32 v3, s15
	v_add_co_u32_e32 v2, vcc, s14, v4
	v_addc_co_u32_e32 v3, vcc, v3, v5, vcc
	v_mov_b32_e32 v6, s13
	v_add_co_u32_e32 v4, vcc, s12, v4
	v_addc_co_u32_e32 v5, vcc, v6, v5, vcc
	v_lshlrev_b32_e32 v6, 3, v0
	s_mov_b32 s7, 0
	v_mov_b32_e32 v7, s17
	v_add_co_u32_e32 v6, vcc, s16, v6
	s_lshl_b64 s[2:3], s[0:1], 3
	v_addc_co_u32_e32 v7, vcc, 0, v7, vcc
	s_mov_b64 s[4:5], 0
	v_mov_b32_e32 v10, s7
	s_branch .LBB42_4
.LBB42_3:                               ;   in Loop: Header=BB42_4 Depth=1
	s_or_b64 exec, exec, s[0:1]
	v_add_co_u32_e32 v0, vcc, 32, v0
	v_addc_co_u32_e32 v1, vcc, 0, v1, vcc
	v_add_co_u32_e32 v2, vcc, 0x100, v2
	v_addc_co_u32_e32 v3, vcc, 0, v3, vcc
	;; [unrolled: 2-line block ×3, first 2 shown]
	v_add_co_u32_e32 v6, vcc, 0x100, v6
	v_cmp_le_i64_e64 s[0:1], s[8:9], v[0:1]
	s_or_b64 s[4:5], s[0:1], s[4:5]
	v_addc_co_u32_e32 v7, vcc, 0, v7, vcc
	s_andn2_b64 exec, exec, s[4:5]
	s_cbranch_execz .LBB42_6
.LBB42_4:                               ; =>This Inner Loop Header: Depth=1
	global_load_dwordx2 v[8:9], v[2:3], off
	s_waitcnt vmcnt(0)
	v_subrev_co_u32_e32 v8, vcc, s6, v8
	v_subb_co_u32_e32 v9, vcc, v9, v10, vcc
	v_cmp_lt_i64_e32 vcc, -1, v[8:9]
	v_cmp_gt_i64_e64 s[0:1], s[10:11], v[8:9]
	s_and_b64 s[12:13], vcc, s[0:1]
	s_and_saveexec_b64 s[0:1], s[12:13]
	s_cbranch_execz .LBB42_3
; %bb.5:                                ;   in Loop: Header=BB42_4 Depth=1
	v_mad_u64_u32 v[12:13], s[12:13], s2, v8, v[6:7]
	v_mul_lo_u32 v9, s2, v9
	v_mul_lo_u32 v8, s3, v8
	v_add3_u32 v13, v8, v13, v9
	global_load_dwordx2 v[8:9], v[12:13], off
	s_waitcnt vmcnt(0)
	global_store_dwordx2 v[4:5], v[8:9], off
	s_branch .LBB42_3
.LBB42_6:
	s_endpgm
	.section	.rodata,"a",@progbits
	.p2align	6, 0x0
	.amdhsa_kernel _ZN9rocsparseL23sddmm_ell_sample_kernelILi16ELi32EdldEEvT2_S1_PKT3_lS1_PS2_PKS1_21rocsparse_index_base_
		.amdhsa_group_segment_fixed_size 0
		.amdhsa_private_segment_fixed_size 0
		.amdhsa_kernarg_size 60
		.amdhsa_user_sgpr_count 6
		.amdhsa_user_sgpr_private_segment_buffer 1
		.amdhsa_user_sgpr_dispatch_ptr 0
		.amdhsa_user_sgpr_queue_ptr 0
		.amdhsa_user_sgpr_kernarg_segment_ptr 1
		.amdhsa_user_sgpr_dispatch_id 0
		.amdhsa_user_sgpr_flat_scratch_init 0
		.amdhsa_user_sgpr_kernarg_preload_length 0
		.amdhsa_user_sgpr_kernarg_preload_offset 0
		.amdhsa_user_sgpr_private_segment_size 0
		.amdhsa_uses_dynamic_stack 0
		.amdhsa_system_sgpr_private_segment_wavefront_offset 0
		.amdhsa_system_sgpr_workgroup_id_x 1
		.amdhsa_system_sgpr_workgroup_id_y 0
		.amdhsa_system_sgpr_workgroup_id_z 0
		.amdhsa_system_sgpr_workgroup_info 0
		.amdhsa_system_vgpr_workitem_id 0
		.amdhsa_next_free_vgpr 14
		.amdhsa_next_free_sgpr 18
		.amdhsa_accum_offset 16
		.amdhsa_reserve_vcc 1
		.amdhsa_reserve_flat_scratch 0
		.amdhsa_float_round_mode_32 0
		.amdhsa_float_round_mode_16_64 0
		.amdhsa_float_denorm_mode_32 3
		.amdhsa_float_denorm_mode_16_64 3
		.amdhsa_dx10_clamp 1
		.amdhsa_ieee_mode 1
		.amdhsa_fp16_overflow 0
		.amdhsa_tg_split 0
		.amdhsa_exception_fp_ieee_invalid_op 0
		.amdhsa_exception_fp_denorm_src 0
		.amdhsa_exception_fp_ieee_div_zero 0
		.amdhsa_exception_fp_ieee_overflow 0
		.amdhsa_exception_fp_ieee_underflow 0
		.amdhsa_exception_fp_ieee_inexact 0
		.amdhsa_exception_int_div_zero 0
	.end_amdhsa_kernel
	.section	.text._ZN9rocsparseL23sddmm_ell_sample_kernelILi16ELi32EdldEEvT2_S1_PKT3_lS1_PS2_PKS1_21rocsparse_index_base_,"axG",@progbits,_ZN9rocsparseL23sddmm_ell_sample_kernelILi16ELi32EdldEEvT2_S1_PKT3_lS1_PS2_PKS1_21rocsparse_index_base_,comdat
.Lfunc_end42:
	.size	_ZN9rocsparseL23sddmm_ell_sample_kernelILi16ELi32EdldEEvT2_S1_PKT3_lS1_PS2_PKS1_21rocsparse_index_base_, .Lfunc_end42-_ZN9rocsparseL23sddmm_ell_sample_kernelILi16ELi32EdldEEvT2_S1_PKT3_lS1_PS2_PKS1_21rocsparse_index_base_
                                        ; -- End function
	.section	.AMDGPU.csdata,"",@progbits
; Kernel info:
; codeLenInByte = 364
; NumSgprs: 22
; NumVgprs: 14
; NumAgprs: 0
; TotalNumVgprs: 14
; ScratchSize: 0
; MemoryBound: 0
; FloatMode: 240
; IeeeMode: 1
; LDSByteSize: 0 bytes/workgroup (compile time only)
; SGPRBlocks: 2
; VGPRBlocks: 1
; NumSGPRsForWavesPerEU: 22
; NumVGPRsForWavesPerEU: 14
; AccumOffset: 16
; Occupancy: 8
; WaveLimiterHint : 1
; COMPUTE_PGM_RSRC2:SCRATCH_EN: 0
; COMPUTE_PGM_RSRC2:USER_SGPR: 6
; COMPUTE_PGM_RSRC2:TRAP_HANDLER: 0
; COMPUTE_PGM_RSRC2:TGID_X_EN: 1
; COMPUTE_PGM_RSRC2:TGID_Y_EN: 0
; COMPUTE_PGM_RSRC2:TGID_Z_EN: 0
; COMPUTE_PGM_RSRC2:TIDIG_COMP_CNT: 0
; COMPUTE_PGM_RSRC3_GFX90A:ACCUM_OFFSET: 3
; COMPUTE_PGM_RSRC3_GFX90A:TG_SPLIT: 0
	.section	.text._ZN9rocsparseL23sddmm_ell_sample_kernelILi16ELi64EdldEEvT2_S1_PKT3_lS1_PS2_PKS1_21rocsparse_index_base_,"axG",@progbits,_ZN9rocsparseL23sddmm_ell_sample_kernelILi16ELi64EdldEEvT2_S1_PKT3_lS1_PS2_PKS1_21rocsparse_index_base_,comdat
	.globl	_ZN9rocsparseL23sddmm_ell_sample_kernelILi16ELi64EdldEEvT2_S1_PKT3_lS1_PS2_PKS1_21rocsparse_index_base_ ; -- Begin function _ZN9rocsparseL23sddmm_ell_sample_kernelILi16ELi64EdldEEvT2_S1_PKT3_lS1_PS2_PKS1_21rocsparse_index_base_
	.p2align	8
	.type	_ZN9rocsparseL23sddmm_ell_sample_kernelILi16ELi64EdldEEvT2_S1_PKT3_lS1_PS2_PKS1_21rocsparse_index_base_,@function
_ZN9rocsparseL23sddmm_ell_sample_kernelILi16ELi64EdldEEvT2_S1_PKT3_lS1_PS2_PKS1_21rocsparse_index_base_: ; @_ZN9rocsparseL23sddmm_ell_sample_kernelILi16ELi64EdldEEvT2_S1_PKT3_lS1_PS2_PKS1_21rocsparse_index_base_
; %bb.0:
	s_load_dwordx4 s[0:3], s[4:5], 0x18
	v_lshrrev_b32_e32 v1, 6, v0
	v_lshl_or_b32 v2, s6, 4, v1
	v_mov_b32_e32 v1, 0
	v_mov_b32_e32 v3, v1
	s_waitcnt lgkmcnt(0)
	v_cmp_gt_i64_e32 vcc, s[2:3], v[2:3]
	s_and_saveexec_b64 s[2:3], vcc
	s_cbranch_execz .LBB43_6
; %bb.1:
	s_load_dwordx4 s[8:11], s[4:5], 0x0
	v_and_b32_e32 v0, 63, v0
	s_waitcnt lgkmcnt(0)
	v_cmp_gt_i64_e32 vcc, s[8:9], v[0:1]
	s_and_b64 exec, exec, vcc
	s_cbranch_execz .LBB43_6
; %bb.2:
	v_mad_u64_u32 v[4:5], s[2:3], v2, s8, v[0:1]
	s_load_dwordx2 s[16:17], s[4:5], 0x10
	s_load_dwordx4 s[12:15], s[4:5], 0x28
	s_load_dword s6, s[4:5], 0x38
	v_mov_b32_e32 v6, v5
	v_mad_u64_u32 v[2:3], s[2:3], v2, s9, v[6:7]
	v_mov_b32_e32 v5, v2
	v_lshlrev_b64 v[4:5], 3, v[4:5]
	s_waitcnt lgkmcnt(0)
	v_mov_b32_e32 v3, s15
	v_add_co_u32_e32 v2, vcc, s14, v4
	v_addc_co_u32_e32 v3, vcc, v3, v5, vcc
	v_mov_b32_e32 v6, s13
	v_add_co_u32_e32 v4, vcc, s12, v4
	v_addc_co_u32_e32 v5, vcc, v6, v5, vcc
	v_lshlrev_b32_e32 v6, 3, v0
	s_mov_b32 s7, 0
	v_mov_b32_e32 v7, s17
	v_add_co_u32_e32 v6, vcc, s16, v6
	s_lshl_b64 s[2:3], s[0:1], 3
	v_addc_co_u32_e32 v7, vcc, 0, v7, vcc
	s_mov_b64 s[4:5], 0
	v_mov_b32_e32 v10, s7
	s_branch .LBB43_4
.LBB43_3:                               ;   in Loop: Header=BB43_4 Depth=1
	s_or_b64 exec, exec, s[0:1]
	v_add_co_u32_e32 v0, vcc, 64, v0
	v_addc_co_u32_e32 v1, vcc, 0, v1, vcc
	v_add_co_u32_e32 v2, vcc, 0x200, v2
	v_addc_co_u32_e32 v3, vcc, 0, v3, vcc
	;; [unrolled: 2-line block ×3, first 2 shown]
	v_add_co_u32_e32 v6, vcc, 0x200, v6
	v_cmp_le_i64_e64 s[0:1], s[8:9], v[0:1]
	s_or_b64 s[4:5], s[0:1], s[4:5]
	v_addc_co_u32_e32 v7, vcc, 0, v7, vcc
	s_andn2_b64 exec, exec, s[4:5]
	s_cbranch_execz .LBB43_6
.LBB43_4:                               ; =>This Inner Loop Header: Depth=1
	global_load_dwordx2 v[8:9], v[2:3], off
	s_waitcnt vmcnt(0)
	v_subrev_co_u32_e32 v8, vcc, s6, v8
	v_subb_co_u32_e32 v9, vcc, v9, v10, vcc
	v_cmp_lt_i64_e32 vcc, -1, v[8:9]
	v_cmp_gt_i64_e64 s[0:1], s[10:11], v[8:9]
	s_and_b64 s[12:13], vcc, s[0:1]
	s_and_saveexec_b64 s[0:1], s[12:13]
	s_cbranch_execz .LBB43_3
; %bb.5:                                ;   in Loop: Header=BB43_4 Depth=1
	v_mad_u64_u32 v[12:13], s[12:13], s2, v8, v[6:7]
	v_mul_lo_u32 v9, s2, v9
	v_mul_lo_u32 v8, s3, v8
	v_add3_u32 v13, v8, v13, v9
	global_load_dwordx2 v[8:9], v[12:13], off
	s_waitcnt vmcnt(0)
	global_store_dwordx2 v[4:5], v[8:9], off
	s_branch .LBB43_3
.LBB43_6:
	s_endpgm
	.section	.rodata,"a",@progbits
	.p2align	6, 0x0
	.amdhsa_kernel _ZN9rocsparseL23sddmm_ell_sample_kernelILi16ELi64EdldEEvT2_S1_PKT3_lS1_PS2_PKS1_21rocsparse_index_base_
		.amdhsa_group_segment_fixed_size 0
		.amdhsa_private_segment_fixed_size 0
		.amdhsa_kernarg_size 60
		.amdhsa_user_sgpr_count 6
		.amdhsa_user_sgpr_private_segment_buffer 1
		.amdhsa_user_sgpr_dispatch_ptr 0
		.amdhsa_user_sgpr_queue_ptr 0
		.amdhsa_user_sgpr_kernarg_segment_ptr 1
		.amdhsa_user_sgpr_dispatch_id 0
		.amdhsa_user_sgpr_flat_scratch_init 0
		.amdhsa_user_sgpr_kernarg_preload_length 0
		.amdhsa_user_sgpr_kernarg_preload_offset 0
		.amdhsa_user_sgpr_private_segment_size 0
		.amdhsa_uses_dynamic_stack 0
		.amdhsa_system_sgpr_private_segment_wavefront_offset 0
		.amdhsa_system_sgpr_workgroup_id_x 1
		.amdhsa_system_sgpr_workgroup_id_y 0
		.amdhsa_system_sgpr_workgroup_id_z 0
		.amdhsa_system_sgpr_workgroup_info 0
		.amdhsa_system_vgpr_workitem_id 0
		.amdhsa_next_free_vgpr 14
		.amdhsa_next_free_sgpr 18
		.amdhsa_accum_offset 16
		.amdhsa_reserve_vcc 1
		.amdhsa_reserve_flat_scratch 0
		.amdhsa_float_round_mode_32 0
		.amdhsa_float_round_mode_16_64 0
		.amdhsa_float_denorm_mode_32 3
		.amdhsa_float_denorm_mode_16_64 3
		.amdhsa_dx10_clamp 1
		.amdhsa_ieee_mode 1
		.amdhsa_fp16_overflow 0
		.amdhsa_tg_split 0
		.amdhsa_exception_fp_ieee_invalid_op 0
		.amdhsa_exception_fp_denorm_src 0
		.amdhsa_exception_fp_ieee_div_zero 0
		.amdhsa_exception_fp_ieee_overflow 0
		.amdhsa_exception_fp_ieee_underflow 0
		.amdhsa_exception_fp_ieee_inexact 0
		.amdhsa_exception_int_div_zero 0
	.end_amdhsa_kernel
	.section	.text._ZN9rocsparseL23sddmm_ell_sample_kernelILi16ELi64EdldEEvT2_S1_PKT3_lS1_PS2_PKS1_21rocsparse_index_base_,"axG",@progbits,_ZN9rocsparseL23sddmm_ell_sample_kernelILi16ELi64EdldEEvT2_S1_PKT3_lS1_PS2_PKS1_21rocsparse_index_base_,comdat
.Lfunc_end43:
	.size	_ZN9rocsparseL23sddmm_ell_sample_kernelILi16ELi64EdldEEvT2_S1_PKT3_lS1_PS2_PKS1_21rocsparse_index_base_, .Lfunc_end43-_ZN9rocsparseL23sddmm_ell_sample_kernelILi16ELi64EdldEEvT2_S1_PKT3_lS1_PS2_PKS1_21rocsparse_index_base_
                                        ; -- End function
	.section	.AMDGPU.csdata,"",@progbits
; Kernel info:
; codeLenInByte = 364
; NumSgprs: 22
; NumVgprs: 14
; NumAgprs: 0
; TotalNumVgprs: 14
; ScratchSize: 0
; MemoryBound: 0
; FloatMode: 240
; IeeeMode: 1
; LDSByteSize: 0 bytes/workgroup (compile time only)
; SGPRBlocks: 2
; VGPRBlocks: 1
; NumSGPRsForWavesPerEU: 22
; NumVGPRsForWavesPerEU: 14
; AccumOffset: 16
; Occupancy: 8
; WaveLimiterHint : 1
; COMPUTE_PGM_RSRC2:SCRATCH_EN: 0
; COMPUTE_PGM_RSRC2:USER_SGPR: 6
; COMPUTE_PGM_RSRC2:TRAP_HANDLER: 0
; COMPUTE_PGM_RSRC2:TGID_X_EN: 1
; COMPUTE_PGM_RSRC2:TGID_Y_EN: 0
; COMPUTE_PGM_RSRC2:TGID_Z_EN: 0
; COMPUTE_PGM_RSRC2:TIDIG_COMP_CNT: 0
; COMPUTE_PGM_RSRC3_GFX90A:ACCUM_OFFSET: 3
; COMPUTE_PGM_RSRC3_GFX90A:TG_SPLIT: 0
	.section	.text._ZN9rocsparseL16sddmm_ell_kernelILi512ELi8EdlldddEEv20rocsparse_operation_S1_16rocsparse_order_S2_T3_S3_S3_T2_NS_24const_host_device_scalarIT1_EEPKT4_lPKT5_lS7_PT6_PKS3_21rocsparse_index_base_b,"axG",@progbits,_ZN9rocsparseL16sddmm_ell_kernelILi512ELi8EdlldddEEv20rocsparse_operation_S1_16rocsparse_order_S2_T3_S3_S3_T2_NS_24const_host_device_scalarIT1_EEPKT4_lPKT5_lS7_PT6_PKS3_21rocsparse_index_base_b,comdat
	.globl	_ZN9rocsparseL16sddmm_ell_kernelILi512ELi8EdlldddEEv20rocsparse_operation_S1_16rocsparse_order_S2_T3_S3_S3_T2_NS_24const_host_device_scalarIT1_EEPKT4_lPKT5_lS7_PT6_PKS3_21rocsparse_index_base_b ; -- Begin function _ZN9rocsparseL16sddmm_ell_kernelILi512ELi8EdlldddEEv20rocsparse_operation_S1_16rocsparse_order_S2_T3_S3_S3_T2_NS_24const_host_device_scalarIT1_EEPKT4_lPKT5_lS7_PT6_PKS3_21rocsparse_index_base_b
	.p2align	8
	.type	_ZN9rocsparseL16sddmm_ell_kernelILi512ELi8EdlldddEEv20rocsparse_operation_S1_16rocsparse_order_S2_T3_S3_S3_T2_NS_24const_host_device_scalarIT1_EEPKT4_lPKT5_lS7_PT6_PKS3_21rocsparse_index_base_b,@function
_ZN9rocsparseL16sddmm_ell_kernelILi512ELi8EdlldddEEv20rocsparse_operation_S1_16rocsparse_order_S2_T3_S3_S3_T2_NS_24const_host_device_scalarIT1_EEPKT4_lPKT5_lS7_PT6_PKS3_21rocsparse_index_base_b: ; @_ZN9rocsparseL16sddmm_ell_kernelILi512ELi8EdlldddEEv20rocsparse_operation_S1_16rocsparse_order_S2_T3_S3_S3_T2_NS_24const_host_device_scalarIT1_EEPKT4_lPKT5_lS7_PT6_PKS3_21rocsparse_index_base_b
; %bb.0:
	s_load_dwordx2 s[16:17], s[4:5], 0x70
	s_load_dwordx2 s[2:3], s[4:5], 0x30
	s_load_dwordx4 s[12:15], s[4:5], 0x50
	s_waitcnt lgkmcnt(0)
	s_bitcmp1_b32 s17, 0
	s_cselect_b64 s[8:9], -1, 0
	s_xor_b64 s[0:1], s[8:9], -1
	s_and_b64 vcc, exec, s[8:9]
	v_pk_mov_b32 v[2:3], s[2:3], s[2:3] op_sel:[0,1]
	s_cbranch_vccnz .LBB44_2
; %bb.1:
	v_pk_mov_b32 v[2:3], s[2:3], s[2:3] op_sel:[0,1]
	flat_load_dwordx2 v[2:3], v[2:3]
.LBB44_2:
	s_andn2_b64 vcc, exec, s[0:1]
	v_pk_mov_b32 v[4:5], s[14:15], s[14:15] op_sel:[0,1]
	s_cbranch_vccnz .LBB44_4
; %bb.3:
	v_pk_mov_b32 v[4:5], s[14:15], s[14:15] op_sel:[0,1]
	flat_load_dwordx2 v[4:5], v[4:5]
.LBB44_4:
	s_waitcnt vmcnt(0) lgkmcnt(0)
	v_cmp_neq_f64_e32 vcc, 0, v[2:3]
	v_cmp_neq_f64_e64 s[0:1], 1.0, v[4:5]
	s_or_b64 s[0:1], vcc, s[0:1]
	s_and_saveexec_b64 s[2:3], s[0:1]
	s_cbranch_execz .LBB44_39
; %bb.5:
	s_load_dwordx4 s[8:11], s[4:5], 0x20
	v_lshrrev_b32_e32 v16, 3, v0
	v_lshl_or_b32 v6, s6, 6, v16
	v_mov_b32_e32 v7, 0
	s_waitcnt lgkmcnt(0)
	v_cmp_gt_i64_e32 vcc, s[10:11], v[6:7]
	s_and_b64 exec, exec, vcc
	s_cbranch_execz .LBB44_39
; %bb.6:
	s_load_dwordx2 s[10:11], s[4:5], 0x10
	s_load_dwordx2 s[6:7], s[4:5], 0x68
	s_mov_b32 s0, 0
                                        ; implicit-def: $vgpr12_vgpr13
	s_waitcnt lgkmcnt(0)
	s_mov_b32 s1, s11
	s_cmp_lg_u64 s[0:1], 0
	s_cselect_b64 s[0:1], -1, 0
	s_and_saveexec_b64 s[2:3], s[0:1]
	s_xor_b64 s[14:15], exec, s[2:3]
	s_cbranch_execz .LBB44_8
; %bb.7:
	s_ashr_i32 s0, s11, 31
	s_add_u32 s2, s10, s0
	s_mov_b32 s1, s0
	s_addc_u32 s3, s11, s0
	s_xor_b64 s[18:19], s[2:3], s[0:1]
	v_cvt_f32_u32_e32 v1, s18
	v_cvt_f32_u32_e32 v8, s19
	s_sub_u32 s0, 0, s18
	s_subb_u32 s1, 0, s19
	v_madmk_f32 v1, v8, 0x4f800000, v1
	v_rcp_f32_e32 v1, v1
	v_mul_f32_e32 v1, 0x5f7ffffc, v1
	v_mul_f32_e32 v8, 0x2f800000, v1
	v_trunc_f32_e32 v8, v8
	v_madmk_f32 v1, v8, 0xcf800000, v1
	v_cvt_u32_f32_e32 v8, v8
	v_cvt_u32_f32_e32 v1, v1
	v_mul_lo_u32 v9, s0, v8
	v_mul_hi_u32 v11, s0, v1
	v_mul_lo_u32 v10, s1, v1
	v_add_u32_e32 v9, v11, v9
	v_mul_lo_u32 v12, s0, v1
	v_add_u32_e32 v9, v9, v10
	v_mul_lo_u32 v11, v1, v9
	v_mul_hi_u32 v13, v1, v12
	v_mul_hi_u32 v10, v1, v9
	v_add_co_u32_e32 v11, vcc, v13, v11
	v_addc_co_u32_e32 v10, vcc, 0, v10, vcc
	v_mul_hi_u32 v14, v8, v12
	v_mul_lo_u32 v12, v8, v12
	v_add_co_u32_e32 v11, vcc, v11, v12
	v_mul_hi_u32 v13, v8, v9
	v_addc_co_u32_e32 v10, vcc, v10, v14, vcc
	v_addc_co_u32_e32 v11, vcc, 0, v13, vcc
	v_mul_lo_u32 v9, v8, v9
	v_add_co_u32_e32 v9, vcc, v10, v9
	v_addc_co_u32_e32 v10, vcc, 0, v11, vcc
	v_add_co_u32_e32 v1, vcc, v1, v9
	v_addc_co_u32_e32 v8, vcc, v8, v10, vcc
	v_mul_lo_u32 v9, s0, v8
	v_mul_hi_u32 v10, s0, v1
	v_add_u32_e32 v9, v10, v9
	v_mul_lo_u32 v10, s1, v1
	v_add_u32_e32 v9, v9, v10
	v_mul_lo_u32 v11, s0, v1
	v_mul_hi_u32 v12, v8, v11
	v_mul_lo_u32 v13, v8, v11
	v_mul_lo_u32 v15, v1, v9
	v_mul_hi_u32 v11, v1, v11
	v_mul_hi_u32 v14, v1, v9
	v_add_co_u32_e32 v11, vcc, v11, v15
	v_addc_co_u32_e32 v14, vcc, 0, v14, vcc
	v_add_co_u32_e32 v11, vcc, v11, v13
	v_mul_hi_u32 v10, v8, v9
	v_addc_co_u32_e32 v11, vcc, v14, v12, vcc
	v_addc_co_u32_e32 v10, vcc, 0, v10, vcc
	v_mul_lo_u32 v9, v8, v9
	v_add_co_u32_e32 v9, vcc, v11, v9
	v_addc_co_u32_e32 v10, vcc, 0, v10, vcc
	v_add_co_u32_e32 v1, vcc, v1, v9
	v_addc_co_u32_e32 v10, vcc, v8, v10, vcc
	v_mad_u64_u32 v[8:9], s[0:1], v6, v10, 0
	v_mul_hi_u32 v11, v6, v1
	v_add_co_u32_e32 v12, vcc, v11, v8
	v_addc_co_u32_e32 v13, vcc, 0, v9, vcc
	v_mad_u64_u32 v[8:9], s[0:1], 0, v10, 0
	v_mad_u64_u32 v[10:11], s[0:1], 0, v1, 0
	v_add_co_u32_e32 v1, vcc, v12, v10
	v_addc_co_u32_e32 v1, vcc, v13, v11, vcc
	v_addc_co_u32_e32 v9, vcc, 0, v9, vcc
	v_add_co_u32_e32 v1, vcc, v1, v8
	v_addc_co_u32_e32 v8, vcc, 0, v9, vcc
	v_mul_lo_u32 v10, s19, v1
	v_mul_lo_u32 v11, s18, v8
	v_mad_u64_u32 v[8:9], s[0:1], s18, v1, 0
	v_add3_u32 v1, v9, v11, v10
	v_sub_u32_e32 v9, 0, v1
	v_mov_b32_e32 v10, s19
	v_sub_co_u32_e32 v8, vcc, v6, v8
	v_subb_co_u32_e64 v9, s[0:1], v9, v10, vcc
	v_subrev_co_u32_e64 v11, s[0:1], s18, v8
	v_subbrev_co_u32_e64 v12, s[2:3], 0, v9, s[0:1]
	v_cmp_le_u32_e64 s[2:3], s19, v12
	v_cndmask_b32_e64 v13, 0, -1, s[2:3]
	v_cmp_le_u32_e64 s[2:3], s18, v11
	v_subb_co_u32_e64 v9, s[0:1], v9, v10, s[0:1]
	v_cndmask_b32_e64 v14, 0, -1, s[2:3]
	v_cmp_eq_u32_e64 s[2:3], s19, v12
	v_subrev_co_u32_e64 v10, s[0:1], s18, v11
	v_cndmask_b32_e64 v13, v13, v14, s[2:3]
	v_subbrev_co_u32_e64 v9, s[0:1], 0, v9, s[0:1]
	v_subb_co_u32_e32 v1, vcc, 0, v1, vcc
	v_cmp_ne_u32_e64 s[0:1], 0, v13
	v_cmp_le_u32_e32 vcc, s19, v1
	v_cndmask_b32_e64 v9, v12, v9, s[0:1]
	v_cndmask_b32_e64 v12, 0, -1, vcc
	v_cmp_le_u32_e32 vcc, s18, v8
	v_cndmask_b32_e64 v13, 0, -1, vcc
	v_cmp_eq_u32_e32 vcc, s19, v1
	v_cndmask_b32_e32 v12, v12, v13, vcc
	v_cmp_ne_u32_e32 vcc, 0, v12
	v_cndmask_b32_e32 v1, v1, v9, vcc
	v_cndmask_b32_e64 v9, v11, v10, s[0:1]
	v_cndmask_b32_e32 v8, v8, v9, vcc
	v_subrev_co_u32_e32 v12, vcc, 0, v8
	v_subbrev_co_u32_e32 v13, vcc, 0, v1, vcc
.LBB44_8:
	s_andn2_saveexec_b64 s[0:1], s[14:15]
	s_cbranch_execz .LBB44_10
; %bb.9:
	v_cvt_f32_u32_e32 v1, s10
	s_sub_i32 s2, 0, s10
	v_mov_b32_e32 v13, 0
	v_rcp_iflag_f32_e32 v1, v1
	v_mul_f32_e32 v1, 0x4f7ffffe, v1
	v_cvt_u32_f32_e32 v1, v1
	v_mul_lo_u32 v8, s2, v1
	v_mul_hi_u32 v8, v1, v8
	v_add_u32_e32 v1, v1, v8
	v_mul_hi_u32 v1, v6, v1
	v_mul_lo_u32 v1, v1, s10
	v_sub_u32_e32 v1, v6, v1
	v_subrev_u32_e32 v8, s10, v1
	v_cmp_le_u32_e32 vcc, s10, v1
	v_cndmask_b32_e32 v1, v1, v8, vcc
	v_subrev_u32_e32 v8, s10, v1
	v_cmp_le_u32_e32 vcc, s10, v1
	v_cndmask_b32_e32 v12, v1, v8, vcc
.LBB44_10:
	s_or_b64 exec, exec, s[0:1]
	v_lshlrev_b64 v[6:7], 3, v[6:7]
	v_mov_b32_e32 v1, s7
	v_add_co_u32_e32 v8, vcc, s6, v6
	v_addc_co_u32_e32 v9, vcc, v1, v7, vcc
	global_load_dwordx2 v[8:9], v[8:9], off
	s_mov_b64 s[18:19], -1
	s_waitcnt vmcnt(0)
	v_subrev_co_u32_e32 v10, vcc, s16, v8
	v_subbrev_co_u32_e32 v11, vcc, 0, v9, vcc
	v_cmp_lt_i64_e32 vcc, -1, v[10:11]
	s_and_b64 exec, exec, vcc
	s_cbranch_execz .LBB44_39
; %bb.11:
	s_load_dwordx4 s[0:3], s[4:5], 0x0
	s_load_dwordx2 s[6:7], s[4:5], 0x40
	s_waitcnt lgkmcnt(0)
	s_cmp_eq_u32 s2, 1
	s_cselect_b64 s[10:11], -1, 0
	s_cmpk_eq_i32 s0, 0x6f
	s_cselect_b64 s[14:15], -1, 0
	s_cmpk_lg_i32 s0, 0x6f
	s_cselect_b64 s[16:17], -1, 0
	s_cmp_lg_u32 s2, 1
	s_cbranch_scc0 .LBB44_15
; %bb.12:
	s_andn2_b64 vcc, exec, s[14:15]
	v_pk_mov_b32 v[8:9], v[12:13], v[12:13] op_sel:[0,1]
	s_cbranch_vccnz .LBB44_14
; %bb.13:
	v_mul_lo_u32 v1, v13, s6
	v_mul_lo_u32 v14, v12, s7
	v_mad_u64_u32 v[8:9], s[18:19], v12, s6, 0
	v_add3_u32 v9, v9, v14, v1
.LBB44_14:
	s_cbranch_execz .LBB44_16
	s_branch .LBB44_19
.LBB44_15:
                                        ; implicit-def: $vgpr8_vgpr9
	s_andn2_b64 vcc, exec, s[18:19]
	s_cbranch_vccnz .LBB44_19
.LBB44_16:
	s_andn2_b64 vcc, exec, s[16:17]
	s_cbranch_vccnz .LBB44_18
; %bb.17:
	v_mul_lo_u32 v1, v13, s6
	v_mul_lo_u32 v8, v12, s7
	v_mad_u64_u32 v[12:13], s[16:17], v12, s6, 0
	v_add3_u32 v13, v13, v8, v1
.LBB44_18:
	v_pk_mov_b32 v[8:9], v[12:13], v[12:13] op_sel:[0,1]
.LBB44_19:
	s_cmp_eq_u32 s3, 1
	s_cselect_b64 s[16:17], -1, 0
	s_cmpk_eq_i32 s1, 0x6f
	s_cselect_b64 s[18:19], -1, 0
	s_cmpk_lg_i32 s1, 0x6f
	s_cselect_b64 s[0:1], -1, 0
	s_cmp_lg_u32 s3, 1
	s_cbranch_scc0 .LBB44_23
; %bb.20:
	s_andn2_b64 vcc, exec, s[0:1]
	v_pk_mov_b32 v[12:13], v[10:11], v[10:11] op_sel:[0,1]
	s_cbranch_vccnz .LBB44_22
; %bb.21:
	v_mul_lo_u32 v1, v11, s12
	v_mul_lo_u32 v14, v10, s13
	v_mad_u64_u32 v[12:13], s[0:1], v10, s12, 0
	v_add3_u32 v13, v13, v14, v1
.LBB44_22:
	s_cbranch_execz .LBB44_24
	s_branch .LBB44_27
.LBB44_23:
                                        ; implicit-def: $vgpr12_vgpr13
.LBB44_24:
	s_andn2_b64 vcc, exec, s[18:19]
	s_cbranch_vccnz .LBB44_26
; %bb.25:
	v_mul_lo_u32 v1, v11, s12
	v_mul_lo_u32 v12, v10, s13
	v_mad_u64_u32 v[10:11], s[0:1], v10, s12, 0
	v_add3_u32 v11, v11, v12, v1
.LBB44_26:
	v_pk_mov_b32 v[12:13], v[10:11], v[10:11] op_sel:[0,1]
.LBB44_27:
	s_load_dwordx2 s[0:1], s[4:5], 0x60
	v_and_b32_e32 v0, 7, v0
	v_mov_b32_e32 v1, 0
	v_cmp_gt_i64_e32 vcc, s[8:9], v[0:1]
	v_pk_mov_b32 v[14:15], 0, 0
	s_and_saveexec_b64 s[2:3], vcc
	s_cbranch_execz .LBB44_31
; %bb.28:
	s_load_dwordx2 s[20:21], s[4:5], 0x38
	s_load_dwordx2 s[22:23], s[4:5], 0x48
	s_xor_b64 s[4:5], s[14:15], s[10:11]
	s_and_b64 s[4:5], s[4:5], exec
	s_cselect_b32 s7, 0, s7
	s_cselect_b32 s6, 1, s6
	s_xor_b64 s[4:5], s[18:19], s[16:17]
	s_and_b64 s[4:5], s[4:5], exec
	s_cselect_b32 s4, s12, 1
	v_mad_u64_u32 v[10:11], s[10:11], s4, v0, 0
	s_cselect_b32 s5, s13, 0
	v_mov_b32_e32 v14, v11
	v_mad_u64_u32 v[14:15], s[10:11], s5, v0, v[14:15]
	v_mov_b32_e32 v11, v14
	v_lshlrev_b64 v[10:11], 3, v[10:11]
	v_lshlrev_b64 v[12:13], 3, v[12:13]
	v_add_co_u32_e32 v10, vcc, v10, v12
	v_addc_co_u32_e32 v11, vcc, v11, v13, vcc
	s_waitcnt lgkmcnt(0)
	v_mov_b32_e32 v12, s23
	v_add_co_u32_e32 v10, vcc, s22, v10
	v_addc_co_u32_e32 v11, vcc, v12, v11, vcc
	v_mad_u64_u32 v[12:13], s[10:11], s6, v0, 0
	v_mov_b32_e32 v14, v13
	v_mad_u64_u32 v[14:15], s[10:11], s7, v0, v[14:15]
	v_mov_b32_e32 v13, v14
	v_lshlrev_b64 v[12:13], 3, v[12:13]
	v_lshlrev_b64 v[8:9], 3, v[8:9]
	v_add_co_u32_e32 v8, vcc, v12, v8
	v_addc_co_u32_e32 v9, vcc, v13, v9, vcc
	s_lshl_b64 s[4:5], s[4:5], 6
	v_mov_b32_e32 v12, s21
	v_add_co_u32_e32 v8, vcc, s20, v8
	s_lshl_b64 s[10:11], s[6:7], 6
	v_addc_co_u32_e32 v9, vcc, v12, v9, vcc
	s_mov_b64 s[6:7], 0
	v_pk_mov_b32 v[14:15], 0, 0
	v_mov_b32_e32 v17, s5
	v_mov_b32_e32 v18, s11
	v_pk_mov_b32 v[12:13], v[0:1], v[0:1] op_sel:[0,1]
.LBB44_29:                              ; =>This Inner Loop Header: Depth=1
	global_load_dwordx2 v[20:21], v[8:9], off
	global_load_dwordx2 v[22:23], v[10:11], off
	v_add_co_u32_e32 v12, vcc, 8, v12
	v_addc_co_u32_e32 v13, vcc, 0, v13, vcc
	v_add_co_u32_e32 v10, vcc, s4, v10
	v_addc_co_u32_e32 v11, vcc, v11, v17, vcc
	;; [unrolled: 2-line block ×3, first 2 shown]
	v_cmp_le_i64_e32 vcc, s[8:9], v[12:13]
	s_or_b64 s[6:7], vcc, s[6:7]
	s_waitcnt vmcnt(0)
	v_fmac_f64_e32 v[14:15], v[20:21], v[22:23]
	s_andn2_b64 exec, exec, s[6:7]
	s_cbranch_execnz .LBB44_29
; %bb.30:
	s_or_b64 exec, exec, s[6:7]
.LBB44_31:
	s_or_b64 exec, exec, s[2:3]
	v_lshlrev_b32_e32 v1, 3, v0
	v_lshl_or_b32 v1, v16, 6, v1
	v_cmp_gt_u32_e32 vcc, 4, v0
	ds_write_b64 v1, v[14:15]
	s_waitcnt lgkmcnt(0)
	s_barrier
	s_and_saveexec_b64 s[2:3], vcc
	s_cbranch_execz .LBB44_33
; %bb.32:
	ds_read2_b64 v[8:11], v1 offset1:4
	s_waitcnt lgkmcnt(0)
	v_add_f64 v[8:9], v[10:11], v[8:9]
	ds_write_b64 v1, v[8:9]
.LBB44_33:
	s_or_b64 exec, exec, s[2:3]
	v_cmp_gt_u32_e32 vcc, 2, v0
	s_waitcnt lgkmcnt(0)
	s_barrier
	s_and_saveexec_b64 s[2:3], vcc
	s_cbranch_execz .LBB44_35
; %bb.34:
	ds_read2_b64 v[8:11], v1 offset1:2
	s_waitcnt lgkmcnt(0)
	v_add_f64 v[8:9], v[10:11], v[8:9]
	ds_write_b64 v1, v[8:9]
.LBB44_35:
	s_or_b64 exec, exec, s[2:3]
	v_cmp_eq_u32_e32 vcc, 0, v0
	v_lshlrev_b32_e32 v0, 6, v16
	s_waitcnt lgkmcnt(0)
	s_barrier
	s_and_saveexec_b64 s[2:3], vcc
	s_cbranch_execz .LBB44_37
; %bb.36:
	ds_read_b64 v[8:9], v0 offset:8
	ds_read_b64 v[10:11], v1
	s_waitcnt lgkmcnt(0)
	v_add_f64 v[8:9], v[8:9], v[10:11]
	ds_write_b64 v1, v[8:9]
.LBB44_37:
	s_or_b64 exec, exec, s[2:3]
	s_waitcnt lgkmcnt(0)
	s_barrier
	s_and_b64 exec, exec, vcc
	s_cbranch_execz .LBB44_39
; %bb.38:
	v_mov_b32_e32 v1, s1
	v_add_co_u32_e32 v6, vcc, s0, v6
	v_addc_co_u32_e32 v7, vcc, v1, v7, vcc
	global_load_dwordx2 v[8:9], v[6:7], off
	ds_read_b64 v[0:1], v0
	s_waitcnt lgkmcnt(0)
	v_mul_f64 v[0:1], v[2:3], v[0:1]
	s_waitcnt vmcnt(0)
	v_fmac_f64_e32 v[0:1], v[4:5], v[8:9]
	global_store_dwordx2 v[6:7], v[0:1], off
.LBB44_39:
	s_endpgm
	.section	.rodata,"a",@progbits
	.p2align	6, 0x0
	.amdhsa_kernel _ZN9rocsparseL16sddmm_ell_kernelILi512ELi8EdlldddEEv20rocsparse_operation_S1_16rocsparse_order_S2_T3_S3_S3_T2_NS_24const_host_device_scalarIT1_EEPKT4_lPKT5_lS7_PT6_PKS3_21rocsparse_index_base_b
		.amdhsa_group_segment_fixed_size 4096
		.amdhsa_private_segment_fixed_size 0
		.amdhsa_kernarg_size 120
		.amdhsa_user_sgpr_count 6
		.amdhsa_user_sgpr_private_segment_buffer 1
		.amdhsa_user_sgpr_dispatch_ptr 0
		.amdhsa_user_sgpr_queue_ptr 0
		.amdhsa_user_sgpr_kernarg_segment_ptr 1
		.amdhsa_user_sgpr_dispatch_id 0
		.amdhsa_user_sgpr_flat_scratch_init 0
		.amdhsa_user_sgpr_kernarg_preload_length 0
		.amdhsa_user_sgpr_kernarg_preload_offset 0
		.amdhsa_user_sgpr_private_segment_size 0
		.amdhsa_uses_dynamic_stack 0
		.amdhsa_system_sgpr_private_segment_wavefront_offset 0
		.amdhsa_system_sgpr_workgroup_id_x 1
		.amdhsa_system_sgpr_workgroup_id_y 0
		.amdhsa_system_sgpr_workgroup_id_z 0
		.amdhsa_system_sgpr_workgroup_info 0
		.amdhsa_system_vgpr_workitem_id 0
		.amdhsa_next_free_vgpr 24
		.amdhsa_next_free_sgpr 24
		.amdhsa_accum_offset 24
		.amdhsa_reserve_vcc 1
		.amdhsa_reserve_flat_scratch 0
		.amdhsa_float_round_mode_32 0
		.amdhsa_float_round_mode_16_64 0
		.amdhsa_float_denorm_mode_32 3
		.amdhsa_float_denorm_mode_16_64 3
		.amdhsa_dx10_clamp 1
		.amdhsa_ieee_mode 1
		.amdhsa_fp16_overflow 0
		.amdhsa_tg_split 0
		.amdhsa_exception_fp_ieee_invalid_op 0
		.amdhsa_exception_fp_denorm_src 0
		.amdhsa_exception_fp_ieee_div_zero 0
		.amdhsa_exception_fp_ieee_overflow 0
		.amdhsa_exception_fp_ieee_underflow 0
		.amdhsa_exception_fp_ieee_inexact 0
		.amdhsa_exception_int_div_zero 0
	.end_amdhsa_kernel
	.section	.text._ZN9rocsparseL16sddmm_ell_kernelILi512ELi8EdlldddEEv20rocsparse_operation_S1_16rocsparse_order_S2_T3_S3_S3_T2_NS_24const_host_device_scalarIT1_EEPKT4_lPKT5_lS7_PT6_PKS3_21rocsparse_index_base_b,"axG",@progbits,_ZN9rocsparseL16sddmm_ell_kernelILi512ELi8EdlldddEEv20rocsparse_operation_S1_16rocsparse_order_S2_T3_S3_S3_T2_NS_24const_host_device_scalarIT1_EEPKT4_lPKT5_lS7_PT6_PKS3_21rocsparse_index_base_b,comdat
.Lfunc_end44:
	.size	_ZN9rocsparseL16sddmm_ell_kernelILi512ELi8EdlldddEEv20rocsparse_operation_S1_16rocsparse_order_S2_T3_S3_S3_T2_NS_24const_host_device_scalarIT1_EEPKT4_lPKT5_lS7_PT6_PKS3_21rocsparse_index_base_b, .Lfunc_end44-_ZN9rocsparseL16sddmm_ell_kernelILi512ELi8EdlldddEEv20rocsparse_operation_S1_16rocsparse_order_S2_T3_S3_S3_T2_NS_24const_host_device_scalarIT1_EEPKT4_lPKT5_lS7_PT6_PKS3_21rocsparse_index_base_b
                                        ; -- End function
	.section	.AMDGPU.csdata,"",@progbits
; Kernel info:
; codeLenInByte = 1896
; NumSgprs: 28
; NumVgprs: 24
; NumAgprs: 0
; TotalNumVgprs: 24
; ScratchSize: 0
; MemoryBound: 0
; FloatMode: 240
; IeeeMode: 1
; LDSByteSize: 4096 bytes/workgroup (compile time only)
; SGPRBlocks: 3
; VGPRBlocks: 2
; NumSGPRsForWavesPerEU: 28
; NumVGPRsForWavesPerEU: 24
; AccumOffset: 24
; Occupancy: 8
; WaveLimiterHint : 0
; COMPUTE_PGM_RSRC2:SCRATCH_EN: 0
; COMPUTE_PGM_RSRC2:USER_SGPR: 6
; COMPUTE_PGM_RSRC2:TRAP_HANDLER: 0
; COMPUTE_PGM_RSRC2:TGID_X_EN: 1
; COMPUTE_PGM_RSRC2:TGID_Y_EN: 0
; COMPUTE_PGM_RSRC2:TGID_Z_EN: 0
; COMPUTE_PGM_RSRC2:TIDIG_COMP_CNT: 0
; COMPUTE_PGM_RSRC3_GFX90A:ACCUM_OFFSET: 5
; COMPUTE_PGM_RSRC3_GFX90A:TG_SPLIT: 0
	.section	.text._ZN9rocsparseL16sddmm_ell_kernelILi512ELi4EdlldddEEv20rocsparse_operation_S1_16rocsparse_order_S2_T3_S3_S3_T2_NS_24const_host_device_scalarIT1_EEPKT4_lPKT5_lS7_PT6_PKS3_21rocsparse_index_base_b,"axG",@progbits,_ZN9rocsparseL16sddmm_ell_kernelILi512ELi4EdlldddEEv20rocsparse_operation_S1_16rocsparse_order_S2_T3_S3_S3_T2_NS_24const_host_device_scalarIT1_EEPKT4_lPKT5_lS7_PT6_PKS3_21rocsparse_index_base_b,comdat
	.globl	_ZN9rocsparseL16sddmm_ell_kernelILi512ELi4EdlldddEEv20rocsparse_operation_S1_16rocsparse_order_S2_T3_S3_S3_T2_NS_24const_host_device_scalarIT1_EEPKT4_lPKT5_lS7_PT6_PKS3_21rocsparse_index_base_b ; -- Begin function _ZN9rocsparseL16sddmm_ell_kernelILi512ELi4EdlldddEEv20rocsparse_operation_S1_16rocsparse_order_S2_T3_S3_S3_T2_NS_24const_host_device_scalarIT1_EEPKT4_lPKT5_lS7_PT6_PKS3_21rocsparse_index_base_b
	.p2align	8
	.type	_ZN9rocsparseL16sddmm_ell_kernelILi512ELi4EdlldddEEv20rocsparse_operation_S1_16rocsparse_order_S2_T3_S3_S3_T2_NS_24const_host_device_scalarIT1_EEPKT4_lPKT5_lS7_PT6_PKS3_21rocsparse_index_base_b,@function
_ZN9rocsparseL16sddmm_ell_kernelILi512ELi4EdlldddEEv20rocsparse_operation_S1_16rocsparse_order_S2_T3_S3_S3_T2_NS_24const_host_device_scalarIT1_EEPKT4_lPKT5_lS7_PT6_PKS3_21rocsparse_index_base_b: ; @_ZN9rocsparseL16sddmm_ell_kernelILi512ELi4EdlldddEEv20rocsparse_operation_S1_16rocsparse_order_S2_T3_S3_S3_T2_NS_24const_host_device_scalarIT1_EEPKT4_lPKT5_lS7_PT6_PKS3_21rocsparse_index_base_b
; %bb.0:
	s_load_dwordx2 s[16:17], s[4:5], 0x70
	s_load_dwordx2 s[2:3], s[4:5], 0x30
	s_load_dwordx4 s[12:15], s[4:5], 0x50
	s_waitcnt lgkmcnt(0)
	s_bitcmp1_b32 s17, 0
	s_cselect_b64 s[8:9], -1, 0
	s_xor_b64 s[0:1], s[8:9], -1
	s_and_b64 vcc, exec, s[8:9]
	v_pk_mov_b32 v[2:3], s[2:3], s[2:3] op_sel:[0,1]
	s_cbranch_vccnz .LBB45_2
; %bb.1:
	v_pk_mov_b32 v[2:3], s[2:3], s[2:3] op_sel:[0,1]
	flat_load_dwordx2 v[2:3], v[2:3]
.LBB45_2:
	s_andn2_b64 vcc, exec, s[0:1]
	v_pk_mov_b32 v[4:5], s[14:15], s[14:15] op_sel:[0,1]
	s_cbranch_vccnz .LBB45_4
; %bb.3:
	v_pk_mov_b32 v[4:5], s[14:15], s[14:15] op_sel:[0,1]
	flat_load_dwordx2 v[4:5], v[4:5]
.LBB45_4:
	s_waitcnt vmcnt(0) lgkmcnt(0)
	v_cmp_neq_f64_e32 vcc, 0, v[2:3]
	v_cmp_neq_f64_e64 s[0:1], 1.0, v[4:5]
	s_or_b64 s[0:1], vcc, s[0:1]
	s_and_saveexec_b64 s[2:3], s[0:1]
	s_cbranch_execz .LBB45_37
; %bb.5:
	s_load_dwordx4 s[8:11], s[4:5], 0x20
	v_lshrrev_b32_e32 v16, 2, v0
	v_lshl_or_b32 v6, s6, 7, v16
	v_mov_b32_e32 v7, 0
	s_waitcnt lgkmcnt(0)
	v_cmp_gt_i64_e32 vcc, s[10:11], v[6:7]
	s_and_b64 exec, exec, vcc
	s_cbranch_execz .LBB45_37
; %bb.6:
	s_load_dwordx2 s[10:11], s[4:5], 0x10
	s_load_dwordx2 s[6:7], s[4:5], 0x68
	s_mov_b32 s0, 0
                                        ; implicit-def: $vgpr12_vgpr13
	s_waitcnt lgkmcnt(0)
	s_mov_b32 s1, s11
	s_cmp_lg_u64 s[0:1], 0
	s_cselect_b64 s[0:1], -1, 0
	s_and_saveexec_b64 s[2:3], s[0:1]
	s_xor_b64 s[14:15], exec, s[2:3]
	s_cbranch_execz .LBB45_8
; %bb.7:
	s_ashr_i32 s0, s11, 31
	s_add_u32 s2, s10, s0
	s_mov_b32 s1, s0
	s_addc_u32 s3, s11, s0
	s_xor_b64 s[18:19], s[2:3], s[0:1]
	v_cvt_f32_u32_e32 v1, s18
	v_cvt_f32_u32_e32 v8, s19
	s_sub_u32 s0, 0, s18
	s_subb_u32 s1, 0, s19
	v_madmk_f32 v1, v8, 0x4f800000, v1
	v_rcp_f32_e32 v1, v1
	v_mul_f32_e32 v1, 0x5f7ffffc, v1
	v_mul_f32_e32 v8, 0x2f800000, v1
	v_trunc_f32_e32 v8, v8
	v_madmk_f32 v1, v8, 0xcf800000, v1
	v_cvt_u32_f32_e32 v8, v8
	v_cvt_u32_f32_e32 v1, v1
	v_mul_lo_u32 v9, s0, v8
	v_mul_hi_u32 v11, s0, v1
	v_mul_lo_u32 v10, s1, v1
	v_add_u32_e32 v9, v11, v9
	v_mul_lo_u32 v12, s0, v1
	v_add_u32_e32 v9, v9, v10
	v_mul_lo_u32 v11, v1, v9
	v_mul_hi_u32 v13, v1, v12
	v_mul_hi_u32 v10, v1, v9
	v_add_co_u32_e32 v11, vcc, v13, v11
	v_addc_co_u32_e32 v10, vcc, 0, v10, vcc
	v_mul_hi_u32 v14, v8, v12
	v_mul_lo_u32 v12, v8, v12
	v_add_co_u32_e32 v11, vcc, v11, v12
	v_mul_hi_u32 v13, v8, v9
	v_addc_co_u32_e32 v10, vcc, v10, v14, vcc
	v_addc_co_u32_e32 v11, vcc, 0, v13, vcc
	v_mul_lo_u32 v9, v8, v9
	v_add_co_u32_e32 v9, vcc, v10, v9
	v_addc_co_u32_e32 v10, vcc, 0, v11, vcc
	v_add_co_u32_e32 v1, vcc, v1, v9
	v_addc_co_u32_e32 v8, vcc, v8, v10, vcc
	v_mul_lo_u32 v9, s0, v8
	v_mul_hi_u32 v10, s0, v1
	v_add_u32_e32 v9, v10, v9
	v_mul_lo_u32 v10, s1, v1
	v_add_u32_e32 v9, v9, v10
	v_mul_lo_u32 v11, s0, v1
	v_mul_hi_u32 v12, v8, v11
	v_mul_lo_u32 v13, v8, v11
	v_mul_lo_u32 v15, v1, v9
	v_mul_hi_u32 v11, v1, v11
	v_mul_hi_u32 v14, v1, v9
	v_add_co_u32_e32 v11, vcc, v11, v15
	v_addc_co_u32_e32 v14, vcc, 0, v14, vcc
	v_add_co_u32_e32 v11, vcc, v11, v13
	v_mul_hi_u32 v10, v8, v9
	v_addc_co_u32_e32 v11, vcc, v14, v12, vcc
	v_addc_co_u32_e32 v10, vcc, 0, v10, vcc
	v_mul_lo_u32 v9, v8, v9
	v_add_co_u32_e32 v9, vcc, v11, v9
	v_addc_co_u32_e32 v10, vcc, 0, v10, vcc
	v_add_co_u32_e32 v1, vcc, v1, v9
	v_addc_co_u32_e32 v10, vcc, v8, v10, vcc
	v_mad_u64_u32 v[8:9], s[0:1], v6, v10, 0
	v_mul_hi_u32 v11, v6, v1
	v_add_co_u32_e32 v12, vcc, v11, v8
	v_addc_co_u32_e32 v13, vcc, 0, v9, vcc
	v_mad_u64_u32 v[8:9], s[0:1], 0, v10, 0
	v_mad_u64_u32 v[10:11], s[0:1], 0, v1, 0
	v_add_co_u32_e32 v1, vcc, v12, v10
	v_addc_co_u32_e32 v1, vcc, v13, v11, vcc
	v_addc_co_u32_e32 v9, vcc, 0, v9, vcc
	v_add_co_u32_e32 v1, vcc, v1, v8
	v_addc_co_u32_e32 v8, vcc, 0, v9, vcc
	v_mul_lo_u32 v10, s19, v1
	v_mul_lo_u32 v11, s18, v8
	v_mad_u64_u32 v[8:9], s[0:1], s18, v1, 0
	v_add3_u32 v1, v9, v11, v10
	v_sub_u32_e32 v9, 0, v1
	v_mov_b32_e32 v10, s19
	v_sub_co_u32_e32 v8, vcc, v6, v8
	v_subb_co_u32_e64 v9, s[0:1], v9, v10, vcc
	v_subrev_co_u32_e64 v11, s[0:1], s18, v8
	v_subbrev_co_u32_e64 v12, s[2:3], 0, v9, s[0:1]
	v_cmp_le_u32_e64 s[2:3], s19, v12
	v_cndmask_b32_e64 v13, 0, -1, s[2:3]
	v_cmp_le_u32_e64 s[2:3], s18, v11
	v_subb_co_u32_e64 v9, s[0:1], v9, v10, s[0:1]
	v_cndmask_b32_e64 v14, 0, -1, s[2:3]
	v_cmp_eq_u32_e64 s[2:3], s19, v12
	v_subrev_co_u32_e64 v10, s[0:1], s18, v11
	v_cndmask_b32_e64 v13, v13, v14, s[2:3]
	v_subbrev_co_u32_e64 v9, s[0:1], 0, v9, s[0:1]
	v_subb_co_u32_e32 v1, vcc, 0, v1, vcc
	v_cmp_ne_u32_e64 s[0:1], 0, v13
	v_cmp_le_u32_e32 vcc, s19, v1
	v_cndmask_b32_e64 v9, v12, v9, s[0:1]
	v_cndmask_b32_e64 v12, 0, -1, vcc
	v_cmp_le_u32_e32 vcc, s18, v8
	v_cndmask_b32_e64 v13, 0, -1, vcc
	v_cmp_eq_u32_e32 vcc, s19, v1
	v_cndmask_b32_e32 v12, v12, v13, vcc
	v_cmp_ne_u32_e32 vcc, 0, v12
	v_cndmask_b32_e32 v1, v1, v9, vcc
	v_cndmask_b32_e64 v9, v11, v10, s[0:1]
	v_cndmask_b32_e32 v8, v8, v9, vcc
	v_subrev_co_u32_e32 v12, vcc, 0, v8
	v_subbrev_co_u32_e32 v13, vcc, 0, v1, vcc
.LBB45_8:
	s_andn2_saveexec_b64 s[0:1], s[14:15]
	s_cbranch_execz .LBB45_10
; %bb.9:
	v_cvt_f32_u32_e32 v1, s10
	s_sub_i32 s2, 0, s10
	v_mov_b32_e32 v13, 0
	v_rcp_iflag_f32_e32 v1, v1
	v_mul_f32_e32 v1, 0x4f7ffffe, v1
	v_cvt_u32_f32_e32 v1, v1
	v_mul_lo_u32 v8, s2, v1
	v_mul_hi_u32 v8, v1, v8
	v_add_u32_e32 v1, v1, v8
	v_mul_hi_u32 v1, v6, v1
	v_mul_lo_u32 v1, v1, s10
	v_sub_u32_e32 v1, v6, v1
	v_subrev_u32_e32 v8, s10, v1
	v_cmp_le_u32_e32 vcc, s10, v1
	v_cndmask_b32_e32 v1, v1, v8, vcc
	v_subrev_u32_e32 v8, s10, v1
	v_cmp_le_u32_e32 vcc, s10, v1
	v_cndmask_b32_e32 v12, v1, v8, vcc
.LBB45_10:
	s_or_b64 exec, exec, s[0:1]
	v_lshlrev_b64 v[6:7], 3, v[6:7]
	v_mov_b32_e32 v1, s7
	v_add_co_u32_e32 v8, vcc, s6, v6
	v_addc_co_u32_e32 v9, vcc, v1, v7, vcc
	global_load_dwordx2 v[8:9], v[8:9], off
	s_mov_b64 s[18:19], -1
	s_waitcnt vmcnt(0)
	v_subrev_co_u32_e32 v10, vcc, s16, v8
	v_subbrev_co_u32_e32 v11, vcc, 0, v9, vcc
	v_cmp_lt_i64_e32 vcc, -1, v[10:11]
	s_and_b64 exec, exec, vcc
	s_cbranch_execz .LBB45_37
; %bb.11:
	s_load_dwordx4 s[0:3], s[4:5], 0x0
	s_load_dwordx2 s[6:7], s[4:5], 0x40
	s_waitcnt lgkmcnt(0)
	s_cmp_eq_u32 s2, 1
	s_cselect_b64 s[10:11], -1, 0
	s_cmpk_eq_i32 s0, 0x6f
	s_cselect_b64 s[14:15], -1, 0
	s_cmpk_lg_i32 s0, 0x6f
	s_cselect_b64 s[16:17], -1, 0
	s_cmp_lg_u32 s2, 1
	s_cbranch_scc0 .LBB45_15
; %bb.12:
	s_andn2_b64 vcc, exec, s[14:15]
	v_pk_mov_b32 v[8:9], v[12:13], v[12:13] op_sel:[0,1]
	s_cbranch_vccnz .LBB45_14
; %bb.13:
	v_mul_lo_u32 v1, v13, s6
	v_mul_lo_u32 v14, v12, s7
	v_mad_u64_u32 v[8:9], s[18:19], v12, s6, 0
	v_add3_u32 v9, v9, v14, v1
.LBB45_14:
	s_cbranch_execz .LBB45_16
	s_branch .LBB45_19
.LBB45_15:
                                        ; implicit-def: $vgpr8_vgpr9
	s_andn2_b64 vcc, exec, s[18:19]
	s_cbranch_vccnz .LBB45_19
.LBB45_16:
	s_andn2_b64 vcc, exec, s[16:17]
	s_cbranch_vccnz .LBB45_18
; %bb.17:
	v_mul_lo_u32 v1, v13, s6
	v_mul_lo_u32 v8, v12, s7
	v_mad_u64_u32 v[12:13], s[16:17], v12, s6, 0
	v_add3_u32 v13, v13, v8, v1
.LBB45_18:
	v_pk_mov_b32 v[8:9], v[12:13], v[12:13] op_sel:[0,1]
.LBB45_19:
	s_cmp_eq_u32 s3, 1
	s_cselect_b64 s[16:17], -1, 0
	s_cmpk_eq_i32 s1, 0x6f
	s_cselect_b64 s[18:19], -1, 0
	s_cmpk_lg_i32 s1, 0x6f
	s_cselect_b64 s[0:1], -1, 0
	s_cmp_lg_u32 s3, 1
	s_cbranch_scc0 .LBB45_23
; %bb.20:
	s_andn2_b64 vcc, exec, s[0:1]
	v_pk_mov_b32 v[12:13], v[10:11], v[10:11] op_sel:[0,1]
	s_cbranch_vccnz .LBB45_22
; %bb.21:
	v_mul_lo_u32 v1, v11, s12
	v_mul_lo_u32 v14, v10, s13
	v_mad_u64_u32 v[12:13], s[0:1], v10, s12, 0
	v_add3_u32 v13, v13, v14, v1
.LBB45_22:
	s_cbranch_execz .LBB45_24
	s_branch .LBB45_27
.LBB45_23:
                                        ; implicit-def: $vgpr12_vgpr13
.LBB45_24:
	s_andn2_b64 vcc, exec, s[18:19]
	s_cbranch_vccnz .LBB45_26
; %bb.25:
	v_mul_lo_u32 v1, v11, s12
	v_mul_lo_u32 v12, v10, s13
	v_mad_u64_u32 v[10:11], s[0:1], v10, s12, 0
	v_add3_u32 v11, v11, v12, v1
.LBB45_26:
	v_pk_mov_b32 v[12:13], v[10:11], v[10:11] op_sel:[0,1]
.LBB45_27:
	s_load_dwordx2 s[0:1], s[4:5], 0x60
	v_and_b32_e32 v0, 3, v0
	v_mov_b32_e32 v1, 0
	v_cmp_gt_i64_e32 vcc, s[8:9], v[0:1]
	v_pk_mov_b32 v[14:15], 0, 0
	s_and_saveexec_b64 s[2:3], vcc
	s_cbranch_execz .LBB45_31
; %bb.28:
	s_load_dwordx2 s[20:21], s[4:5], 0x38
	s_load_dwordx2 s[22:23], s[4:5], 0x48
	s_xor_b64 s[4:5], s[14:15], s[10:11]
	s_and_b64 s[4:5], s[4:5], exec
	s_cselect_b32 s7, 0, s7
	s_cselect_b32 s6, 1, s6
	s_xor_b64 s[4:5], s[18:19], s[16:17]
	s_and_b64 s[4:5], s[4:5], exec
	s_cselect_b32 s4, s12, 1
	v_mad_u64_u32 v[10:11], s[10:11], s4, v0, 0
	s_cselect_b32 s5, s13, 0
	v_mov_b32_e32 v14, v11
	v_mad_u64_u32 v[14:15], s[10:11], s5, v0, v[14:15]
	v_mov_b32_e32 v11, v14
	v_lshlrev_b64 v[10:11], 3, v[10:11]
	v_lshlrev_b64 v[12:13], 3, v[12:13]
	v_add_co_u32_e32 v10, vcc, v10, v12
	v_addc_co_u32_e32 v11, vcc, v11, v13, vcc
	s_waitcnt lgkmcnt(0)
	v_mov_b32_e32 v12, s23
	v_add_co_u32_e32 v10, vcc, s22, v10
	v_addc_co_u32_e32 v11, vcc, v12, v11, vcc
	v_mad_u64_u32 v[12:13], s[10:11], s6, v0, 0
	v_mov_b32_e32 v14, v13
	v_mad_u64_u32 v[14:15], s[10:11], s7, v0, v[14:15]
	v_mov_b32_e32 v13, v14
	v_lshlrev_b64 v[12:13], 3, v[12:13]
	v_lshlrev_b64 v[8:9], 3, v[8:9]
	v_add_co_u32_e32 v8, vcc, v12, v8
	v_addc_co_u32_e32 v9, vcc, v13, v9, vcc
	s_lshl_b64 s[4:5], s[4:5], 5
	v_mov_b32_e32 v12, s21
	v_add_co_u32_e32 v8, vcc, s20, v8
	s_lshl_b64 s[10:11], s[6:7], 5
	v_addc_co_u32_e32 v9, vcc, v12, v9, vcc
	s_mov_b64 s[6:7], 0
	v_pk_mov_b32 v[14:15], 0, 0
	v_mov_b32_e32 v17, s5
	v_mov_b32_e32 v18, s11
	v_pk_mov_b32 v[12:13], v[0:1], v[0:1] op_sel:[0,1]
.LBB45_29:                              ; =>This Inner Loop Header: Depth=1
	global_load_dwordx2 v[20:21], v[8:9], off
	global_load_dwordx2 v[22:23], v[10:11], off
	v_add_co_u32_e32 v12, vcc, 4, v12
	v_addc_co_u32_e32 v13, vcc, 0, v13, vcc
	v_add_co_u32_e32 v10, vcc, s4, v10
	v_addc_co_u32_e32 v11, vcc, v11, v17, vcc
	;; [unrolled: 2-line block ×3, first 2 shown]
	v_cmp_le_i64_e32 vcc, s[8:9], v[12:13]
	s_or_b64 s[6:7], vcc, s[6:7]
	s_waitcnt vmcnt(0)
	v_fmac_f64_e32 v[14:15], v[20:21], v[22:23]
	s_andn2_b64 exec, exec, s[6:7]
	s_cbranch_execnz .LBB45_29
; %bb.30:
	s_or_b64 exec, exec, s[6:7]
.LBB45_31:
	s_or_b64 exec, exec, s[2:3]
	v_lshlrev_b32_e32 v1, 3, v0
	v_lshl_or_b32 v1, v16, 5, v1
	v_cmp_gt_u32_e32 vcc, 2, v0
	ds_write_b64 v1, v[14:15]
	s_waitcnt lgkmcnt(0)
	s_barrier
	s_and_saveexec_b64 s[2:3], vcc
	s_cbranch_execz .LBB45_33
; %bb.32:
	ds_read2_b64 v[8:11], v1 offset1:2
	s_waitcnt lgkmcnt(0)
	v_add_f64 v[8:9], v[10:11], v[8:9]
	ds_write_b64 v1, v[8:9]
.LBB45_33:
	s_or_b64 exec, exec, s[2:3]
	v_cmp_eq_u32_e32 vcc, 0, v0
	v_lshlrev_b32_e32 v0, 5, v16
	s_waitcnt lgkmcnt(0)
	s_barrier
	s_and_saveexec_b64 s[2:3], vcc
	s_cbranch_execz .LBB45_35
; %bb.34:
	ds_read_b64 v[8:9], v0 offset:8
	ds_read_b64 v[10:11], v1
	s_waitcnt lgkmcnt(0)
	v_add_f64 v[8:9], v[8:9], v[10:11]
	ds_write_b64 v1, v[8:9]
.LBB45_35:
	s_or_b64 exec, exec, s[2:3]
	s_waitcnt lgkmcnt(0)
	s_barrier
	s_and_b64 exec, exec, vcc
	s_cbranch_execz .LBB45_37
; %bb.36:
	v_mov_b32_e32 v1, s1
	v_add_co_u32_e32 v6, vcc, s0, v6
	v_addc_co_u32_e32 v7, vcc, v1, v7, vcc
	global_load_dwordx2 v[8:9], v[6:7], off
	ds_read_b64 v[0:1], v0
	s_waitcnt lgkmcnt(0)
	v_mul_f64 v[0:1], v[2:3], v[0:1]
	s_waitcnt vmcnt(0)
	v_fmac_f64_e32 v[0:1], v[4:5], v[8:9]
	global_store_dwordx2 v[6:7], v[0:1], off
.LBB45_37:
	s_endpgm
	.section	.rodata,"a",@progbits
	.p2align	6, 0x0
	.amdhsa_kernel _ZN9rocsparseL16sddmm_ell_kernelILi512ELi4EdlldddEEv20rocsparse_operation_S1_16rocsparse_order_S2_T3_S3_S3_T2_NS_24const_host_device_scalarIT1_EEPKT4_lPKT5_lS7_PT6_PKS3_21rocsparse_index_base_b
		.amdhsa_group_segment_fixed_size 4096
		.amdhsa_private_segment_fixed_size 0
		.amdhsa_kernarg_size 120
		.amdhsa_user_sgpr_count 6
		.amdhsa_user_sgpr_private_segment_buffer 1
		.amdhsa_user_sgpr_dispatch_ptr 0
		.amdhsa_user_sgpr_queue_ptr 0
		.amdhsa_user_sgpr_kernarg_segment_ptr 1
		.amdhsa_user_sgpr_dispatch_id 0
		.amdhsa_user_sgpr_flat_scratch_init 0
		.amdhsa_user_sgpr_kernarg_preload_length 0
		.amdhsa_user_sgpr_kernarg_preload_offset 0
		.amdhsa_user_sgpr_private_segment_size 0
		.amdhsa_uses_dynamic_stack 0
		.amdhsa_system_sgpr_private_segment_wavefront_offset 0
		.amdhsa_system_sgpr_workgroup_id_x 1
		.amdhsa_system_sgpr_workgroup_id_y 0
		.amdhsa_system_sgpr_workgroup_id_z 0
		.amdhsa_system_sgpr_workgroup_info 0
		.amdhsa_system_vgpr_workitem_id 0
		.amdhsa_next_free_vgpr 24
		.amdhsa_next_free_sgpr 24
		.amdhsa_accum_offset 24
		.amdhsa_reserve_vcc 1
		.amdhsa_reserve_flat_scratch 0
		.amdhsa_float_round_mode_32 0
		.amdhsa_float_round_mode_16_64 0
		.amdhsa_float_denorm_mode_32 3
		.amdhsa_float_denorm_mode_16_64 3
		.amdhsa_dx10_clamp 1
		.amdhsa_ieee_mode 1
		.amdhsa_fp16_overflow 0
		.amdhsa_tg_split 0
		.amdhsa_exception_fp_ieee_invalid_op 0
		.amdhsa_exception_fp_denorm_src 0
		.amdhsa_exception_fp_ieee_div_zero 0
		.amdhsa_exception_fp_ieee_overflow 0
		.amdhsa_exception_fp_ieee_underflow 0
		.amdhsa_exception_fp_ieee_inexact 0
		.amdhsa_exception_int_div_zero 0
	.end_amdhsa_kernel
	.section	.text._ZN9rocsparseL16sddmm_ell_kernelILi512ELi4EdlldddEEv20rocsparse_operation_S1_16rocsparse_order_S2_T3_S3_S3_T2_NS_24const_host_device_scalarIT1_EEPKT4_lPKT5_lS7_PT6_PKS3_21rocsparse_index_base_b,"axG",@progbits,_ZN9rocsparseL16sddmm_ell_kernelILi512ELi4EdlldddEEv20rocsparse_operation_S1_16rocsparse_order_S2_T3_S3_S3_T2_NS_24const_host_device_scalarIT1_EEPKT4_lPKT5_lS7_PT6_PKS3_21rocsparse_index_base_b,comdat
.Lfunc_end45:
	.size	_ZN9rocsparseL16sddmm_ell_kernelILi512ELi4EdlldddEEv20rocsparse_operation_S1_16rocsparse_order_S2_T3_S3_S3_T2_NS_24const_host_device_scalarIT1_EEPKT4_lPKT5_lS7_PT6_PKS3_21rocsparse_index_base_b, .Lfunc_end45-_ZN9rocsparseL16sddmm_ell_kernelILi512ELi4EdlldddEEv20rocsparse_operation_S1_16rocsparse_order_S2_T3_S3_S3_T2_NS_24const_host_device_scalarIT1_EEPKT4_lPKT5_lS7_PT6_PKS3_21rocsparse_index_base_b
                                        ; -- End function
	.section	.AMDGPU.csdata,"",@progbits
; Kernel info:
; codeLenInByte = 1844
; NumSgprs: 28
; NumVgprs: 24
; NumAgprs: 0
; TotalNumVgprs: 24
; ScratchSize: 0
; MemoryBound: 0
; FloatMode: 240
; IeeeMode: 1
; LDSByteSize: 4096 bytes/workgroup (compile time only)
; SGPRBlocks: 3
; VGPRBlocks: 2
; NumSGPRsForWavesPerEU: 28
; NumVGPRsForWavesPerEU: 24
; AccumOffset: 24
; Occupancy: 8
; WaveLimiterHint : 0
; COMPUTE_PGM_RSRC2:SCRATCH_EN: 0
; COMPUTE_PGM_RSRC2:USER_SGPR: 6
; COMPUTE_PGM_RSRC2:TRAP_HANDLER: 0
; COMPUTE_PGM_RSRC2:TGID_X_EN: 1
; COMPUTE_PGM_RSRC2:TGID_Y_EN: 0
; COMPUTE_PGM_RSRC2:TGID_Z_EN: 0
; COMPUTE_PGM_RSRC2:TIDIG_COMP_CNT: 0
; COMPUTE_PGM_RSRC3_GFX90A:ACCUM_OFFSET: 5
; COMPUTE_PGM_RSRC3_GFX90A:TG_SPLIT: 0
	.section	.text._ZN9rocsparseL16sddmm_ell_kernelILi512ELi2EdlldddEEv20rocsparse_operation_S1_16rocsparse_order_S2_T3_S3_S3_T2_NS_24const_host_device_scalarIT1_EEPKT4_lPKT5_lS7_PT6_PKS3_21rocsparse_index_base_b,"axG",@progbits,_ZN9rocsparseL16sddmm_ell_kernelILi512ELi2EdlldddEEv20rocsparse_operation_S1_16rocsparse_order_S2_T3_S3_S3_T2_NS_24const_host_device_scalarIT1_EEPKT4_lPKT5_lS7_PT6_PKS3_21rocsparse_index_base_b,comdat
	.globl	_ZN9rocsparseL16sddmm_ell_kernelILi512ELi2EdlldddEEv20rocsparse_operation_S1_16rocsparse_order_S2_T3_S3_S3_T2_NS_24const_host_device_scalarIT1_EEPKT4_lPKT5_lS7_PT6_PKS3_21rocsparse_index_base_b ; -- Begin function _ZN9rocsparseL16sddmm_ell_kernelILi512ELi2EdlldddEEv20rocsparse_operation_S1_16rocsparse_order_S2_T3_S3_S3_T2_NS_24const_host_device_scalarIT1_EEPKT4_lPKT5_lS7_PT6_PKS3_21rocsparse_index_base_b
	.p2align	8
	.type	_ZN9rocsparseL16sddmm_ell_kernelILi512ELi2EdlldddEEv20rocsparse_operation_S1_16rocsparse_order_S2_T3_S3_S3_T2_NS_24const_host_device_scalarIT1_EEPKT4_lPKT5_lS7_PT6_PKS3_21rocsparse_index_base_b,@function
_ZN9rocsparseL16sddmm_ell_kernelILi512ELi2EdlldddEEv20rocsparse_operation_S1_16rocsparse_order_S2_T3_S3_S3_T2_NS_24const_host_device_scalarIT1_EEPKT4_lPKT5_lS7_PT6_PKS3_21rocsparse_index_base_b: ; @_ZN9rocsparseL16sddmm_ell_kernelILi512ELi2EdlldddEEv20rocsparse_operation_S1_16rocsparse_order_S2_T3_S3_S3_T2_NS_24const_host_device_scalarIT1_EEPKT4_lPKT5_lS7_PT6_PKS3_21rocsparse_index_base_b
; %bb.0:
	s_load_dwordx2 s[16:17], s[4:5], 0x70
	s_load_dwordx2 s[2:3], s[4:5], 0x30
	s_load_dwordx4 s[12:15], s[4:5], 0x50
	s_waitcnt lgkmcnt(0)
	s_bitcmp1_b32 s17, 0
	s_cselect_b64 s[8:9], -1, 0
	s_xor_b64 s[0:1], s[8:9], -1
	s_and_b64 vcc, exec, s[8:9]
	v_pk_mov_b32 v[2:3], s[2:3], s[2:3] op_sel:[0,1]
	s_cbranch_vccnz .LBB46_2
; %bb.1:
	v_pk_mov_b32 v[2:3], s[2:3], s[2:3] op_sel:[0,1]
	flat_load_dwordx2 v[2:3], v[2:3]
.LBB46_2:
	s_andn2_b64 vcc, exec, s[0:1]
	v_pk_mov_b32 v[4:5], s[14:15], s[14:15] op_sel:[0,1]
	s_cbranch_vccnz .LBB46_4
; %bb.3:
	v_pk_mov_b32 v[4:5], s[14:15], s[14:15] op_sel:[0,1]
	flat_load_dwordx2 v[4:5], v[4:5]
.LBB46_4:
	s_waitcnt vmcnt(0) lgkmcnt(0)
	v_cmp_neq_f64_e32 vcc, 0, v[2:3]
	v_cmp_neq_f64_e64 s[0:1], 1.0, v[4:5]
	s_or_b64 s[0:1], vcc, s[0:1]
	s_and_saveexec_b64 s[2:3], s[0:1]
	s_cbranch_execz .LBB46_35
; %bb.5:
	s_load_dwordx4 s[8:11], s[4:5], 0x20
	v_lshrrev_b32_e32 v16, 1, v0
	v_lshl_or_b32 v6, s6, 8, v16
	v_mov_b32_e32 v7, 0
	s_waitcnt lgkmcnt(0)
	v_cmp_gt_i64_e32 vcc, s[10:11], v[6:7]
	s_and_b64 exec, exec, vcc
	s_cbranch_execz .LBB46_35
; %bb.6:
	s_load_dwordx2 s[10:11], s[4:5], 0x10
	s_load_dwordx2 s[6:7], s[4:5], 0x68
	s_mov_b32 s0, 0
                                        ; implicit-def: $vgpr12_vgpr13
	s_waitcnt lgkmcnt(0)
	s_mov_b32 s1, s11
	s_cmp_lg_u64 s[0:1], 0
	s_cselect_b64 s[0:1], -1, 0
	s_and_saveexec_b64 s[2:3], s[0:1]
	s_xor_b64 s[14:15], exec, s[2:3]
	s_cbranch_execz .LBB46_8
; %bb.7:
	s_ashr_i32 s0, s11, 31
	s_add_u32 s2, s10, s0
	s_mov_b32 s1, s0
	s_addc_u32 s3, s11, s0
	s_xor_b64 s[18:19], s[2:3], s[0:1]
	v_cvt_f32_u32_e32 v1, s18
	v_cvt_f32_u32_e32 v8, s19
	s_sub_u32 s0, 0, s18
	s_subb_u32 s1, 0, s19
	v_madmk_f32 v1, v8, 0x4f800000, v1
	v_rcp_f32_e32 v1, v1
	v_mul_f32_e32 v1, 0x5f7ffffc, v1
	v_mul_f32_e32 v8, 0x2f800000, v1
	v_trunc_f32_e32 v8, v8
	v_madmk_f32 v1, v8, 0xcf800000, v1
	v_cvt_u32_f32_e32 v8, v8
	v_cvt_u32_f32_e32 v1, v1
	v_mul_lo_u32 v9, s0, v8
	v_mul_hi_u32 v11, s0, v1
	v_mul_lo_u32 v10, s1, v1
	v_add_u32_e32 v9, v11, v9
	v_mul_lo_u32 v12, s0, v1
	v_add_u32_e32 v9, v9, v10
	v_mul_lo_u32 v11, v1, v9
	v_mul_hi_u32 v13, v1, v12
	v_mul_hi_u32 v10, v1, v9
	v_add_co_u32_e32 v11, vcc, v13, v11
	v_addc_co_u32_e32 v10, vcc, 0, v10, vcc
	v_mul_hi_u32 v14, v8, v12
	v_mul_lo_u32 v12, v8, v12
	v_add_co_u32_e32 v11, vcc, v11, v12
	v_mul_hi_u32 v13, v8, v9
	v_addc_co_u32_e32 v10, vcc, v10, v14, vcc
	v_addc_co_u32_e32 v11, vcc, 0, v13, vcc
	v_mul_lo_u32 v9, v8, v9
	v_add_co_u32_e32 v9, vcc, v10, v9
	v_addc_co_u32_e32 v10, vcc, 0, v11, vcc
	v_add_co_u32_e32 v1, vcc, v1, v9
	v_addc_co_u32_e32 v8, vcc, v8, v10, vcc
	v_mul_lo_u32 v9, s0, v8
	v_mul_hi_u32 v10, s0, v1
	v_add_u32_e32 v9, v10, v9
	v_mul_lo_u32 v10, s1, v1
	v_add_u32_e32 v9, v9, v10
	v_mul_lo_u32 v11, s0, v1
	v_mul_hi_u32 v12, v8, v11
	v_mul_lo_u32 v13, v8, v11
	v_mul_lo_u32 v15, v1, v9
	v_mul_hi_u32 v11, v1, v11
	v_mul_hi_u32 v14, v1, v9
	v_add_co_u32_e32 v11, vcc, v11, v15
	v_addc_co_u32_e32 v14, vcc, 0, v14, vcc
	v_add_co_u32_e32 v11, vcc, v11, v13
	v_mul_hi_u32 v10, v8, v9
	v_addc_co_u32_e32 v11, vcc, v14, v12, vcc
	v_addc_co_u32_e32 v10, vcc, 0, v10, vcc
	v_mul_lo_u32 v9, v8, v9
	v_add_co_u32_e32 v9, vcc, v11, v9
	v_addc_co_u32_e32 v10, vcc, 0, v10, vcc
	v_add_co_u32_e32 v1, vcc, v1, v9
	v_addc_co_u32_e32 v10, vcc, v8, v10, vcc
	v_mad_u64_u32 v[8:9], s[0:1], v6, v10, 0
	v_mul_hi_u32 v11, v6, v1
	v_add_co_u32_e32 v12, vcc, v11, v8
	v_addc_co_u32_e32 v13, vcc, 0, v9, vcc
	v_mad_u64_u32 v[8:9], s[0:1], 0, v10, 0
	v_mad_u64_u32 v[10:11], s[0:1], 0, v1, 0
	v_add_co_u32_e32 v1, vcc, v12, v10
	v_addc_co_u32_e32 v1, vcc, v13, v11, vcc
	v_addc_co_u32_e32 v9, vcc, 0, v9, vcc
	v_add_co_u32_e32 v1, vcc, v1, v8
	v_addc_co_u32_e32 v8, vcc, 0, v9, vcc
	v_mul_lo_u32 v10, s19, v1
	v_mul_lo_u32 v11, s18, v8
	v_mad_u64_u32 v[8:9], s[0:1], s18, v1, 0
	v_add3_u32 v1, v9, v11, v10
	v_sub_u32_e32 v9, 0, v1
	v_mov_b32_e32 v10, s19
	v_sub_co_u32_e32 v8, vcc, v6, v8
	v_subb_co_u32_e64 v9, s[0:1], v9, v10, vcc
	v_subrev_co_u32_e64 v11, s[0:1], s18, v8
	v_subbrev_co_u32_e64 v12, s[2:3], 0, v9, s[0:1]
	v_cmp_le_u32_e64 s[2:3], s19, v12
	v_cndmask_b32_e64 v13, 0, -1, s[2:3]
	v_cmp_le_u32_e64 s[2:3], s18, v11
	v_subb_co_u32_e64 v9, s[0:1], v9, v10, s[0:1]
	v_cndmask_b32_e64 v14, 0, -1, s[2:3]
	v_cmp_eq_u32_e64 s[2:3], s19, v12
	v_subrev_co_u32_e64 v10, s[0:1], s18, v11
	v_cndmask_b32_e64 v13, v13, v14, s[2:3]
	v_subbrev_co_u32_e64 v9, s[0:1], 0, v9, s[0:1]
	v_subb_co_u32_e32 v1, vcc, 0, v1, vcc
	v_cmp_ne_u32_e64 s[0:1], 0, v13
	v_cmp_le_u32_e32 vcc, s19, v1
	v_cndmask_b32_e64 v9, v12, v9, s[0:1]
	v_cndmask_b32_e64 v12, 0, -1, vcc
	v_cmp_le_u32_e32 vcc, s18, v8
	v_cndmask_b32_e64 v13, 0, -1, vcc
	v_cmp_eq_u32_e32 vcc, s19, v1
	v_cndmask_b32_e32 v12, v12, v13, vcc
	v_cmp_ne_u32_e32 vcc, 0, v12
	v_cndmask_b32_e32 v1, v1, v9, vcc
	v_cndmask_b32_e64 v9, v11, v10, s[0:1]
	v_cndmask_b32_e32 v8, v8, v9, vcc
	v_subrev_co_u32_e32 v12, vcc, 0, v8
	v_subbrev_co_u32_e32 v13, vcc, 0, v1, vcc
.LBB46_8:
	s_andn2_saveexec_b64 s[0:1], s[14:15]
	s_cbranch_execz .LBB46_10
; %bb.9:
	v_cvt_f32_u32_e32 v1, s10
	s_sub_i32 s2, 0, s10
	v_mov_b32_e32 v13, 0
	v_rcp_iflag_f32_e32 v1, v1
	v_mul_f32_e32 v1, 0x4f7ffffe, v1
	v_cvt_u32_f32_e32 v1, v1
	v_mul_lo_u32 v8, s2, v1
	v_mul_hi_u32 v8, v1, v8
	v_add_u32_e32 v1, v1, v8
	v_mul_hi_u32 v1, v6, v1
	v_mul_lo_u32 v1, v1, s10
	v_sub_u32_e32 v1, v6, v1
	v_subrev_u32_e32 v8, s10, v1
	v_cmp_le_u32_e32 vcc, s10, v1
	v_cndmask_b32_e32 v1, v1, v8, vcc
	v_subrev_u32_e32 v8, s10, v1
	v_cmp_le_u32_e32 vcc, s10, v1
	v_cndmask_b32_e32 v12, v1, v8, vcc
.LBB46_10:
	s_or_b64 exec, exec, s[0:1]
	v_lshlrev_b64 v[6:7], 3, v[6:7]
	v_mov_b32_e32 v1, s7
	v_add_co_u32_e32 v8, vcc, s6, v6
	v_addc_co_u32_e32 v9, vcc, v1, v7, vcc
	global_load_dwordx2 v[8:9], v[8:9], off
	s_mov_b64 s[18:19], -1
	s_waitcnt vmcnt(0)
	v_subrev_co_u32_e32 v10, vcc, s16, v8
	v_subbrev_co_u32_e32 v11, vcc, 0, v9, vcc
	v_cmp_lt_i64_e32 vcc, -1, v[10:11]
	s_and_b64 exec, exec, vcc
	s_cbranch_execz .LBB46_35
; %bb.11:
	s_load_dwordx4 s[0:3], s[4:5], 0x0
	s_load_dwordx2 s[6:7], s[4:5], 0x40
	s_waitcnt lgkmcnt(0)
	s_cmp_eq_u32 s2, 1
	s_cselect_b64 s[10:11], -1, 0
	s_cmpk_eq_i32 s0, 0x6f
	s_cselect_b64 s[14:15], -1, 0
	s_cmpk_lg_i32 s0, 0x6f
	s_cselect_b64 s[16:17], -1, 0
	s_cmp_lg_u32 s2, 1
	s_cbranch_scc0 .LBB46_15
; %bb.12:
	s_andn2_b64 vcc, exec, s[14:15]
	v_pk_mov_b32 v[8:9], v[12:13], v[12:13] op_sel:[0,1]
	s_cbranch_vccnz .LBB46_14
; %bb.13:
	v_mul_lo_u32 v1, v13, s6
	v_mul_lo_u32 v14, v12, s7
	v_mad_u64_u32 v[8:9], s[18:19], v12, s6, 0
	v_add3_u32 v9, v9, v14, v1
.LBB46_14:
	s_cbranch_execz .LBB46_16
	s_branch .LBB46_19
.LBB46_15:
                                        ; implicit-def: $vgpr8_vgpr9
	s_andn2_b64 vcc, exec, s[18:19]
	s_cbranch_vccnz .LBB46_19
.LBB46_16:
	s_andn2_b64 vcc, exec, s[16:17]
	s_cbranch_vccnz .LBB46_18
; %bb.17:
	v_mul_lo_u32 v1, v13, s6
	v_mul_lo_u32 v8, v12, s7
	v_mad_u64_u32 v[12:13], s[16:17], v12, s6, 0
	v_add3_u32 v13, v13, v8, v1
.LBB46_18:
	v_pk_mov_b32 v[8:9], v[12:13], v[12:13] op_sel:[0,1]
.LBB46_19:
	s_cmp_eq_u32 s3, 1
	s_cselect_b64 s[16:17], -1, 0
	s_cmpk_eq_i32 s1, 0x6f
	s_cselect_b64 s[18:19], -1, 0
	s_cmpk_lg_i32 s1, 0x6f
	s_cselect_b64 s[0:1], -1, 0
	s_cmp_lg_u32 s3, 1
	s_cbranch_scc0 .LBB46_23
; %bb.20:
	s_andn2_b64 vcc, exec, s[0:1]
	v_pk_mov_b32 v[12:13], v[10:11], v[10:11] op_sel:[0,1]
	s_cbranch_vccnz .LBB46_22
; %bb.21:
	v_mul_lo_u32 v1, v11, s12
	v_mul_lo_u32 v14, v10, s13
	v_mad_u64_u32 v[12:13], s[0:1], v10, s12, 0
	v_add3_u32 v13, v13, v14, v1
.LBB46_22:
	s_cbranch_execz .LBB46_24
	s_branch .LBB46_27
.LBB46_23:
                                        ; implicit-def: $vgpr12_vgpr13
.LBB46_24:
	s_andn2_b64 vcc, exec, s[18:19]
	s_cbranch_vccnz .LBB46_26
; %bb.25:
	v_mul_lo_u32 v1, v11, s12
	v_mul_lo_u32 v12, v10, s13
	v_mad_u64_u32 v[10:11], s[0:1], v10, s12, 0
	v_add3_u32 v11, v11, v12, v1
.LBB46_26:
	v_pk_mov_b32 v[12:13], v[10:11], v[10:11] op_sel:[0,1]
.LBB46_27:
	s_load_dwordx2 s[0:1], s[4:5], 0x60
	v_and_b32_e32 v0, 1, v0
	v_mov_b32_e32 v1, 0
	v_cmp_gt_i64_e32 vcc, s[8:9], v[0:1]
	v_pk_mov_b32 v[14:15], 0, 0
	s_and_saveexec_b64 s[2:3], vcc
	s_cbranch_execz .LBB46_31
; %bb.28:
	s_load_dwordx2 s[20:21], s[4:5], 0x38
	s_load_dwordx2 s[22:23], s[4:5], 0x48
	s_xor_b64 s[4:5], s[14:15], s[10:11]
	s_and_b64 s[4:5], s[4:5], exec
	s_cselect_b32 s7, 0, s7
	s_cselect_b32 s6, 1, s6
	s_xor_b64 s[4:5], s[18:19], s[16:17]
	s_and_b64 s[4:5], s[4:5], exec
	s_cselect_b32 s5, s13, 0
	s_cselect_b32 s4, s12, 1
	v_mul_lo_u32 v11, s5, v0
	v_mul_lo_u32 v10, s4, v0
	v_lshlrev_b64 v[10:11], 3, v[10:11]
	v_lshlrev_b64 v[12:13], 3, v[12:13]
	v_add_co_u32_e32 v10, vcc, v10, v12
	v_addc_co_u32_e32 v11, vcc, v11, v13, vcc
	s_waitcnt lgkmcnt(0)
	v_mov_b32_e32 v12, s23
	v_add_co_u32_e32 v10, vcc, s22, v10
	v_addc_co_u32_e32 v11, vcc, v12, v11, vcc
	v_mul_lo_u32 v13, s7, v0
	v_mul_lo_u32 v12, s6, v0
	v_lshlrev_b64 v[12:13], 3, v[12:13]
	v_lshlrev_b64 v[8:9], 3, v[8:9]
	v_add_co_u32_e32 v8, vcc, v12, v8
	v_addc_co_u32_e32 v9, vcc, v13, v9, vcc
	s_lshl_b64 s[4:5], s[4:5], 4
	v_mov_b32_e32 v12, s21
	v_add_co_u32_e32 v8, vcc, s20, v8
	s_lshl_b64 s[10:11], s[6:7], 4
	v_addc_co_u32_e32 v9, vcc, v12, v9, vcc
	s_mov_b64 s[6:7], 0
	v_pk_mov_b32 v[14:15], 0, 0
	v_mov_b32_e32 v17, s5
	v_mov_b32_e32 v18, s11
	v_pk_mov_b32 v[12:13], v[0:1], v[0:1] op_sel:[0,1]
.LBB46_29:                              ; =>This Inner Loop Header: Depth=1
	global_load_dwordx2 v[20:21], v[8:9], off
	global_load_dwordx2 v[22:23], v[10:11], off
	v_add_co_u32_e32 v12, vcc, 2, v12
	v_addc_co_u32_e32 v13, vcc, 0, v13, vcc
	v_add_co_u32_e32 v10, vcc, s4, v10
	v_addc_co_u32_e32 v11, vcc, v11, v17, vcc
	;; [unrolled: 2-line block ×3, first 2 shown]
	v_cmp_le_i64_e32 vcc, s[8:9], v[12:13]
	s_or_b64 s[6:7], vcc, s[6:7]
	s_waitcnt vmcnt(0)
	v_fmac_f64_e32 v[14:15], v[20:21], v[22:23]
	s_andn2_b64 exec, exec, s[6:7]
	s_cbranch_execnz .LBB46_29
; %bb.30:
	s_or_b64 exec, exec, s[6:7]
.LBB46_31:
	s_or_b64 exec, exec, s[2:3]
	v_lshlrev_b32_e32 v1, 4, v16
	v_lshl_or_b32 v8, v0, 3, v1
	v_cmp_eq_u32_e32 vcc, 0, v0
	ds_write_b64 v8, v[14:15]
	s_waitcnt lgkmcnt(0)
	s_barrier
	s_and_saveexec_b64 s[2:3], vcc
	s_cbranch_execz .LBB46_33
; %bb.32:
	ds_read_b64 v[10:11], v1 offset:8
	ds_read_b64 v[12:13], v8
	s_waitcnt lgkmcnt(0)
	v_add_f64 v[10:11], v[10:11], v[12:13]
	ds_write_b64 v8, v[10:11]
.LBB46_33:
	s_or_b64 exec, exec, s[2:3]
	s_waitcnt lgkmcnt(0)
	s_barrier
	s_and_b64 exec, exec, vcc
	s_cbranch_execz .LBB46_35
; %bb.34:
	v_mov_b32_e32 v0, s1
	v_add_co_u32_e32 v6, vcc, s0, v6
	v_addc_co_u32_e32 v7, vcc, v0, v7, vcc
	global_load_dwordx2 v[8:9], v[6:7], off
	ds_read_b64 v[0:1], v1
	s_waitcnt lgkmcnt(0)
	v_mul_f64 v[0:1], v[2:3], v[0:1]
	s_waitcnt vmcnt(0)
	v_fmac_f64_e32 v[0:1], v[4:5], v[8:9]
	global_store_dwordx2 v[6:7], v[0:1], off
.LBB46_35:
	s_endpgm
	.section	.rodata,"a",@progbits
	.p2align	6, 0x0
	.amdhsa_kernel _ZN9rocsparseL16sddmm_ell_kernelILi512ELi2EdlldddEEv20rocsparse_operation_S1_16rocsparse_order_S2_T3_S3_S3_T2_NS_24const_host_device_scalarIT1_EEPKT4_lPKT5_lS7_PT6_PKS3_21rocsparse_index_base_b
		.amdhsa_group_segment_fixed_size 4096
		.amdhsa_private_segment_fixed_size 0
		.amdhsa_kernarg_size 120
		.amdhsa_user_sgpr_count 6
		.amdhsa_user_sgpr_private_segment_buffer 1
		.amdhsa_user_sgpr_dispatch_ptr 0
		.amdhsa_user_sgpr_queue_ptr 0
		.amdhsa_user_sgpr_kernarg_segment_ptr 1
		.amdhsa_user_sgpr_dispatch_id 0
		.amdhsa_user_sgpr_flat_scratch_init 0
		.amdhsa_user_sgpr_kernarg_preload_length 0
		.amdhsa_user_sgpr_kernarg_preload_offset 0
		.amdhsa_user_sgpr_private_segment_size 0
		.amdhsa_uses_dynamic_stack 0
		.amdhsa_system_sgpr_private_segment_wavefront_offset 0
		.amdhsa_system_sgpr_workgroup_id_x 1
		.amdhsa_system_sgpr_workgroup_id_y 0
		.amdhsa_system_sgpr_workgroup_id_z 0
		.amdhsa_system_sgpr_workgroup_info 0
		.amdhsa_system_vgpr_workitem_id 0
		.amdhsa_next_free_vgpr 24
		.amdhsa_next_free_sgpr 24
		.amdhsa_accum_offset 24
		.amdhsa_reserve_vcc 1
		.amdhsa_reserve_flat_scratch 0
		.amdhsa_float_round_mode_32 0
		.amdhsa_float_round_mode_16_64 0
		.amdhsa_float_denorm_mode_32 3
		.amdhsa_float_denorm_mode_16_64 3
		.amdhsa_dx10_clamp 1
		.amdhsa_ieee_mode 1
		.amdhsa_fp16_overflow 0
		.amdhsa_tg_split 0
		.amdhsa_exception_fp_ieee_invalid_op 0
		.amdhsa_exception_fp_denorm_src 0
		.amdhsa_exception_fp_ieee_div_zero 0
		.amdhsa_exception_fp_ieee_overflow 0
		.amdhsa_exception_fp_ieee_underflow 0
		.amdhsa_exception_fp_ieee_inexact 0
		.amdhsa_exception_int_div_zero 0
	.end_amdhsa_kernel
	.section	.text._ZN9rocsparseL16sddmm_ell_kernelILi512ELi2EdlldddEEv20rocsparse_operation_S1_16rocsparse_order_S2_T3_S3_S3_T2_NS_24const_host_device_scalarIT1_EEPKT4_lPKT5_lS7_PT6_PKS3_21rocsparse_index_base_b,"axG",@progbits,_ZN9rocsparseL16sddmm_ell_kernelILi512ELi2EdlldddEEv20rocsparse_operation_S1_16rocsparse_order_S2_T3_S3_S3_T2_NS_24const_host_device_scalarIT1_EEPKT4_lPKT5_lS7_PT6_PKS3_21rocsparse_index_base_b,comdat
.Lfunc_end46:
	.size	_ZN9rocsparseL16sddmm_ell_kernelILi512ELi2EdlldddEEv20rocsparse_operation_S1_16rocsparse_order_S2_T3_S3_S3_T2_NS_24const_host_device_scalarIT1_EEPKT4_lPKT5_lS7_PT6_PKS3_21rocsparse_index_base_b, .Lfunc_end46-_ZN9rocsparseL16sddmm_ell_kernelILi512ELi2EdlldddEEv20rocsparse_operation_S1_16rocsparse_order_S2_T3_S3_S3_T2_NS_24const_host_device_scalarIT1_EEPKT4_lPKT5_lS7_PT6_PKS3_21rocsparse_index_base_b
                                        ; -- End function
	.section	.AMDGPU.csdata,"",@progbits
; Kernel info:
; codeLenInByte = 1772
; NumSgprs: 28
; NumVgprs: 24
; NumAgprs: 0
; TotalNumVgprs: 24
; ScratchSize: 0
; MemoryBound: 0
; FloatMode: 240
; IeeeMode: 1
; LDSByteSize: 4096 bytes/workgroup (compile time only)
; SGPRBlocks: 3
; VGPRBlocks: 2
; NumSGPRsForWavesPerEU: 28
; NumVGPRsForWavesPerEU: 24
; AccumOffset: 24
; Occupancy: 8
; WaveLimiterHint : 0
; COMPUTE_PGM_RSRC2:SCRATCH_EN: 0
; COMPUTE_PGM_RSRC2:USER_SGPR: 6
; COMPUTE_PGM_RSRC2:TRAP_HANDLER: 0
; COMPUTE_PGM_RSRC2:TGID_X_EN: 1
; COMPUTE_PGM_RSRC2:TGID_Y_EN: 0
; COMPUTE_PGM_RSRC2:TGID_Z_EN: 0
; COMPUTE_PGM_RSRC2:TIDIG_COMP_CNT: 0
; COMPUTE_PGM_RSRC3_GFX90A:ACCUM_OFFSET: 5
; COMPUTE_PGM_RSRC3_GFX90A:TG_SPLIT: 0
	.section	.text._ZN9rocsparseL16sddmm_ell_kernelILi512ELi1EdlldddEEv20rocsparse_operation_S1_16rocsparse_order_S2_T3_S3_S3_T2_NS_24const_host_device_scalarIT1_EEPKT4_lPKT5_lS7_PT6_PKS3_21rocsparse_index_base_b,"axG",@progbits,_ZN9rocsparseL16sddmm_ell_kernelILi512ELi1EdlldddEEv20rocsparse_operation_S1_16rocsparse_order_S2_T3_S3_S3_T2_NS_24const_host_device_scalarIT1_EEPKT4_lPKT5_lS7_PT6_PKS3_21rocsparse_index_base_b,comdat
	.globl	_ZN9rocsparseL16sddmm_ell_kernelILi512ELi1EdlldddEEv20rocsparse_operation_S1_16rocsparse_order_S2_T3_S3_S3_T2_NS_24const_host_device_scalarIT1_EEPKT4_lPKT5_lS7_PT6_PKS3_21rocsparse_index_base_b ; -- Begin function _ZN9rocsparseL16sddmm_ell_kernelILi512ELi1EdlldddEEv20rocsparse_operation_S1_16rocsparse_order_S2_T3_S3_S3_T2_NS_24const_host_device_scalarIT1_EEPKT4_lPKT5_lS7_PT6_PKS3_21rocsparse_index_base_b
	.p2align	8
	.type	_ZN9rocsparseL16sddmm_ell_kernelILi512ELi1EdlldddEEv20rocsparse_operation_S1_16rocsparse_order_S2_T3_S3_S3_T2_NS_24const_host_device_scalarIT1_EEPKT4_lPKT5_lS7_PT6_PKS3_21rocsparse_index_base_b,@function
_ZN9rocsparseL16sddmm_ell_kernelILi512ELi1EdlldddEEv20rocsparse_operation_S1_16rocsparse_order_S2_T3_S3_S3_T2_NS_24const_host_device_scalarIT1_EEPKT4_lPKT5_lS7_PT6_PKS3_21rocsparse_index_base_b: ; @_ZN9rocsparseL16sddmm_ell_kernelILi512ELi1EdlldddEEv20rocsparse_operation_S1_16rocsparse_order_S2_T3_S3_S3_T2_NS_24const_host_device_scalarIT1_EEPKT4_lPKT5_lS7_PT6_PKS3_21rocsparse_index_base_b
; %bb.0:
	s_load_dwordx2 s[16:17], s[4:5], 0x70
	s_load_dwordx2 s[2:3], s[4:5], 0x30
	s_load_dwordx4 s[8:11], s[4:5], 0x50
	s_waitcnt lgkmcnt(0)
	s_bitcmp1_b32 s17, 0
	s_cselect_b64 s[12:13], -1, 0
	s_xor_b64 s[0:1], s[12:13], -1
	s_and_b64 vcc, exec, s[12:13]
	v_pk_mov_b32 v[2:3], s[2:3], s[2:3] op_sel:[0,1]
	s_cbranch_vccnz .LBB47_2
; %bb.1:
	v_pk_mov_b32 v[2:3], s[2:3], s[2:3] op_sel:[0,1]
	flat_load_dwordx2 v[2:3], v[2:3]
.LBB47_2:
	s_andn2_b64 vcc, exec, s[0:1]
	v_pk_mov_b32 v[4:5], s[10:11], s[10:11] op_sel:[0,1]
	s_cbranch_vccnz .LBB47_4
; %bb.3:
	v_pk_mov_b32 v[4:5], s[10:11], s[10:11] op_sel:[0,1]
	flat_load_dwordx2 v[4:5], v[4:5]
.LBB47_4:
	s_waitcnt vmcnt(0) lgkmcnt(0)
	v_cmp_neq_f64_e32 vcc, 0, v[2:3]
	v_cmp_neq_f64_e64 s[0:1], 1.0, v[4:5]
	s_or_b64 s[0:1], vcc, s[0:1]
	s_and_saveexec_b64 s[2:3], s[0:1]
	s_cbranch_execz .LBB47_32
; %bb.5:
	s_load_dwordx4 s[12:15], s[4:5], 0x20
	v_lshl_or_b32 v6, s6, 9, v0
	v_mov_b32_e32 v7, 0
	s_waitcnt lgkmcnt(0)
	v_cmp_gt_i64_e32 vcc, s[14:15], v[6:7]
	s_and_b64 exec, exec, vcc
	s_cbranch_execz .LBB47_32
; %bb.6:
	s_load_dwordx2 s[10:11], s[4:5], 0x10
	s_load_dwordx2 s[6:7], s[4:5], 0x68
	s_mov_b32 s0, 0
                                        ; implicit-def: $vgpr12_vgpr13
	s_waitcnt lgkmcnt(0)
	s_mov_b32 s1, s11
	s_cmp_lg_u64 s[0:1], 0
	s_cselect_b64 s[0:1], -1, 0
	s_and_saveexec_b64 s[2:3], s[0:1]
	s_xor_b64 s[14:15], exec, s[2:3]
	s_cbranch_execz .LBB47_8
; %bb.7:
	s_ashr_i32 s0, s11, 31
	s_add_u32 s2, s10, s0
	s_mov_b32 s1, s0
	s_addc_u32 s3, s11, s0
	s_xor_b64 s[18:19], s[2:3], s[0:1]
	v_cvt_f32_u32_e32 v1, s18
	v_cvt_f32_u32_e32 v8, s19
	s_sub_u32 s0, 0, s18
	s_subb_u32 s1, 0, s19
	v_madmk_f32 v1, v8, 0x4f800000, v1
	v_rcp_f32_e32 v1, v1
	v_mul_f32_e32 v1, 0x5f7ffffc, v1
	v_mul_f32_e32 v8, 0x2f800000, v1
	v_trunc_f32_e32 v8, v8
	v_madmk_f32 v1, v8, 0xcf800000, v1
	v_cvt_u32_f32_e32 v8, v8
	v_cvt_u32_f32_e32 v1, v1
	v_mul_lo_u32 v9, s0, v8
	v_mul_hi_u32 v11, s0, v1
	v_mul_lo_u32 v10, s1, v1
	v_add_u32_e32 v9, v11, v9
	v_mul_lo_u32 v12, s0, v1
	v_add_u32_e32 v9, v9, v10
	v_mul_lo_u32 v11, v1, v9
	v_mul_hi_u32 v13, v1, v12
	v_mul_hi_u32 v10, v1, v9
	v_add_co_u32_e32 v11, vcc, v13, v11
	v_addc_co_u32_e32 v10, vcc, 0, v10, vcc
	v_mul_hi_u32 v14, v8, v12
	v_mul_lo_u32 v12, v8, v12
	v_add_co_u32_e32 v11, vcc, v11, v12
	v_mul_hi_u32 v13, v8, v9
	v_addc_co_u32_e32 v10, vcc, v10, v14, vcc
	v_addc_co_u32_e32 v11, vcc, 0, v13, vcc
	v_mul_lo_u32 v9, v8, v9
	v_add_co_u32_e32 v9, vcc, v10, v9
	v_addc_co_u32_e32 v10, vcc, 0, v11, vcc
	v_add_co_u32_e32 v1, vcc, v1, v9
	v_addc_co_u32_e32 v8, vcc, v8, v10, vcc
	v_mul_lo_u32 v9, s0, v8
	v_mul_hi_u32 v10, s0, v1
	v_add_u32_e32 v9, v10, v9
	v_mul_lo_u32 v10, s1, v1
	v_add_u32_e32 v9, v9, v10
	v_mul_lo_u32 v11, s0, v1
	v_mul_hi_u32 v12, v8, v11
	v_mul_lo_u32 v13, v8, v11
	v_mul_lo_u32 v15, v1, v9
	v_mul_hi_u32 v11, v1, v11
	v_mul_hi_u32 v14, v1, v9
	v_add_co_u32_e32 v11, vcc, v11, v15
	v_addc_co_u32_e32 v14, vcc, 0, v14, vcc
	v_add_co_u32_e32 v11, vcc, v11, v13
	v_mul_hi_u32 v10, v8, v9
	v_addc_co_u32_e32 v11, vcc, v14, v12, vcc
	v_addc_co_u32_e32 v10, vcc, 0, v10, vcc
	v_mul_lo_u32 v9, v8, v9
	v_add_co_u32_e32 v9, vcc, v11, v9
	v_addc_co_u32_e32 v10, vcc, 0, v10, vcc
	v_add_co_u32_e32 v1, vcc, v1, v9
	v_addc_co_u32_e32 v10, vcc, v8, v10, vcc
	v_mad_u64_u32 v[8:9], s[0:1], v6, v10, 0
	v_mul_hi_u32 v11, v6, v1
	v_add_co_u32_e32 v12, vcc, v11, v8
	v_addc_co_u32_e32 v13, vcc, 0, v9, vcc
	v_mad_u64_u32 v[8:9], s[0:1], 0, v10, 0
	v_mad_u64_u32 v[10:11], s[0:1], 0, v1, 0
	v_add_co_u32_e32 v1, vcc, v12, v10
	v_addc_co_u32_e32 v1, vcc, v13, v11, vcc
	v_addc_co_u32_e32 v9, vcc, 0, v9, vcc
	v_add_co_u32_e32 v1, vcc, v1, v8
	v_addc_co_u32_e32 v8, vcc, 0, v9, vcc
	v_mul_lo_u32 v10, s19, v1
	v_mul_lo_u32 v11, s18, v8
	v_mad_u64_u32 v[8:9], s[0:1], s18, v1, 0
	v_add3_u32 v1, v9, v11, v10
	v_sub_u32_e32 v9, 0, v1
	v_mov_b32_e32 v10, s19
	v_sub_co_u32_e32 v8, vcc, v6, v8
	v_subb_co_u32_e64 v9, s[0:1], v9, v10, vcc
	v_subrev_co_u32_e64 v11, s[0:1], s18, v8
	v_subbrev_co_u32_e64 v12, s[2:3], 0, v9, s[0:1]
	v_cmp_le_u32_e64 s[2:3], s19, v12
	v_cndmask_b32_e64 v13, 0, -1, s[2:3]
	v_cmp_le_u32_e64 s[2:3], s18, v11
	v_subb_co_u32_e64 v9, s[0:1], v9, v10, s[0:1]
	v_cndmask_b32_e64 v14, 0, -1, s[2:3]
	v_cmp_eq_u32_e64 s[2:3], s19, v12
	v_subrev_co_u32_e64 v10, s[0:1], s18, v11
	v_cndmask_b32_e64 v13, v13, v14, s[2:3]
	v_subbrev_co_u32_e64 v9, s[0:1], 0, v9, s[0:1]
	v_subb_co_u32_e32 v1, vcc, 0, v1, vcc
	v_cmp_ne_u32_e64 s[0:1], 0, v13
	v_cmp_le_u32_e32 vcc, s19, v1
	v_cndmask_b32_e64 v9, v12, v9, s[0:1]
	v_cndmask_b32_e64 v12, 0, -1, vcc
	v_cmp_le_u32_e32 vcc, s18, v8
	v_cndmask_b32_e64 v13, 0, -1, vcc
	v_cmp_eq_u32_e32 vcc, s19, v1
	v_cndmask_b32_e32 v12, v12, v13, vcc
	v_cmp_ne_u32_e32 vcc, 0, v12
	v_cndmask_b32_e32 v1, v1, v9, vcc
	v_cndmask_b32_e64 v9, v11, v10, s[0:1]
	v_cndmask_b32_e32 v8, v8, v9, vcc
	v_subrev_co_u32_e32 v12, vcc, 0, v8
	v_subbrev_co_u32_e32 v13, vcc, 0, v1, vcc
.LBB47_8:
	s_andn2_saveexec_b64 s[0:1], s[14:15]
	s_cbranch_execz .LBB47_10
; %bb.9:
	v_cvt_f32_u32_e32 v1, s10
	s_sub_i32 s2, 0, s10
	v_mov_b32_e32 v13, 0
	v_rcp_iflag_f32_e32 v1, v1
	v_mul_f32_e32 v1, 0x4f7ffffe, v1
	v_cvt_u32_f32_e32 v1, v1
	v_mul_lo_u32 v8, s2, v1
	v_mul_hi_u32 v8, v1, v8
	v_add_u32_e32 v1, v1, v8
	v_mul_hi_u32 v1, v6, v1
	v_mul_lo_u32 v1, v1, s10
	v_sub_u32_e32 v1, v6, v1
	v_subrev_u32_e32 v8, s10, v1
	v_cmp_le_u32_e32 vcc, s10, v1
	v_cndmask_b32_e32 v1, v1, v8, vcc
	v_subrev_u32_e32 v8, s10, v1
	v_cmp_le_u32_e32 vcc, s10, v1
	v_cndmask_b32_e32 v12, v1, v8, vcc
.LBB47_10:
	s_or_b64 exec, exec, s[0:1]
	v_lshlrev_b64 v[6:7], 3, v[6:7]
	v_mov_b32_e32 v1, s7
	v_add_co_u32_e32 v8, vcc, s6, v6
	v_addc_co_u32_e32 v9, vcc, v1, v7, vcc
	global_load_dwordx2 v[8:9], v[8:9], off
	s_mov_b64 s[18:19], -1
	s_waitcnt vmcnt(0)
	v_subrev_co_u32_e32 v8, vcc, s16, v8
	v_subbrev_co_u32_e32 v9, vcc, 0, v9, vcc
	v_cmp_lt_i64_e32 vcc, -1, v[8:9]
	s_and_b64 exec, exec, vcc
	s_cbranch_execz .LBB47_32
; %bb.11:
	s_load_dwordx4 s[0:3], s[4:5], 0x0
	s_load_dwordx2 s[6:7], s[4:5], 0x40
	s_waitcnt lgkmcnt(0)
	s_cmp_eq_u32 s2, 1
	s_cselect_b64 s[10:11], -1, 0
	s_cmpk_eq_i32 s0, 0x6f
	s_cselect_b64 s[14:15], -1, 0
	s_cmpk_lg_i32 s0, 0x6f
	s_cselect_b64 s[16:17], -1, 0
	s_cmp_lg_u32 s2, 1
	s_cbranch_scc0 .LBB47_15
; %bb.12:
	s_andn2_b64 vcc, exec, s[14:15]
	v_pk_mov_b32 v[10:11], v[12:13], v[12:13] op_sel:[0,1]
	s_cbranch_vccnz .LBB47_14
; %bb.13:
	v_mul_lo_u32 v1, v13, s6
	v_mul_lo_u32 v14, v12, s7
	v_mad_u64_u32 v[10:11], s[18:19], v12, s6, 0
	v_add3_u32 v11, v11, v14, v1
.LBB47_14:
	s_cbranch_execz .LBB47_16
	s_branch .LBB47_19
.LBB47_15:
                                        ; implicit-def: $vgpr10_vgpr11
	s_andn2_b64 vcc, exec, s[18:19]
	s_cbranch_vccnz .LBB47_19
.LBB47_16:
	s_andn2_b64 vcc, exec, s[16:17]
	s_cbranch_vccnz .LBB47_18
; %bb.17:
	v_mul_lo_u32 v1, v13, s6
	v_mul_lo_u32 v10, v12, s7
	v_mad_u64_u32 v[12:13], s[16:17], v12, s6, 0
	v_add3_u32 v13, v13, v10, v1
.LBB47_18:
	v_pk_mov_b32 v[10:11], v[12:13], v[12:13] op_sel:[0,1]
.LBB47_19:
	s_cmp_eq_u32 s3, 1
	s_cselect_b64 s[16:17], -1, 0
	s_cmpk_eq_i32 s1, 0x6f
	s_cselect_b64 s[18:19], -1, 0
	s_cmpk_lg_i32 s1, 0x6f
	s_cselect_b64 s[0:1], -1, 0
	s_cmp_lg_u32 s3, 1
	s_cbranch_scc0 .LBB47_23
; %bb.20:
	s_andn2_b64 vcc, exec, s[0:1]
	v_pk_mov_b32 v[12:13], v[8:9], v[8:9] op_sel:[0,1]
	s_cbranch_vccnz .LBB47_22
; %bb.21:
	v_mul_lo_u32 v1, v9, s8
	v_mul_lo_u32 v14, v8, s9
	v_mad_u64_u32 v[12:13], s[0:1], v8, s8, 0
	v_add3_u32 v13, v13, v14, v1
.LBB47_22:
	s_cbranch_execz .LBB47_24
	s_branch .LBB47_27
.LBB47_23:
                                        ; implicit-def: $vgpr12_vgpr13
.LBB47_24:
	s_andn2_b64 vcc, exec, s[18:19]
	s_cbranch_vccnz .LBB47_26
; %bb.25:
	v_mul_lo_u32 v1, v9, s8
	v_mul_lo_u32 v12, v8, s9
	v_mad_u64_u32 v[8:9], s[0:1], v8, s8, 0
	v_add3_u32 v9, v9, v12, v1
.LBB47_26:
	v_pk_mov_b32 v[12:13], v[8:9], v[8:9] op_sel:[0,1]
.LBB47_27:
	s_load_dwordx2 s[0:1], s[4:5], 0x60
	v_cmp_lt_i64_e64 s[2:3], s[12:13], 1
	s_and_b64 vcc, exec, s[2:3]
	s_cbranch_vccnz .LBB47_30
; %bb.28:
	s_load_dwordx2 s[2:3], s[4:5], 0x48
	s_load_dwordx2 s[20:21], s[4:5], 0x38
	v_lshlrev_b64 v[8:9], 3, v[12:13]
	v_lshlrev_b64 v[10:11], 3, v[10:11]
	v_pk_mov_b32 v[12:13], 0, 0
	s_waitcnt lgkmcnt(0)
	v_mov_b32_e32 v1, s3
	v_add_co_u32_e32 v8, vcc, s2, v8
	s_xor_b64 s[2:3], s[14:15], s[10:11]
	s_and_b64 s[2:3], s[2:3], exec
	s_cselect_b32 s5, 0, s7
	s_cselect_b32 s4, 1, s6
	s_xor_b64 s[2:3], s[18:19], s[16:17]
	s_and_b64 s[2:3], s[2:3], exec
	v_addc_co_u32_e32 v9, vcc, v1, v9, vcc
	s_cselect_b32 s3, s9, 0
	s_cselect_b32 s2, s8, 1
	v_mov_b32_e32 v1, s21
	v_add_co_u32_e32 v10, vcc, s20, v10
	s_lshl_b64 s[2:3], s[2:3], 3
	s_lshl_b64 s[4:5], s[4:5], 3
	v_addc_co_u32_e32 v11, vcc, v1, v11, vcc
	v_mov_b32_e32 v1, s3
	v_mov_b32_e32 v14, s5
.LBB47_29:                              ; =>This Inner Loop Header: Depth=1
	global_load_dwordx2 v[16:17], v[10:11], off
	global_load_dwordx2 v[18:19], v[8:9], off
	v_add_co_u32_e32 v8, vcc, s2, v8
	s_add_u32 s12, s12, -1
	v_addc_co_u32_e32 v9, vcc, v9, v1, vcc
	v_add_co_u32_e32 v10, vcc, s4, v10
	s_addc_u32 s13, s13, -1
	v_addc_co_u32_e32 v11, vcc, v11, v14, vcc
	s_cmp_eq_u64 s[12:13], 0
	s_waitcnt vmcnt(0)
	v_fmac_f64_e32 v[12:13], v[16:17], v[18:19]
	s_cbranch_scc0 .LBB47_29
	s_branch .LBB47_31
.LBB47_30:
	v_pk_mov_b32 v[12:13], 0, 0
.LBB47_31:
	v_lshlrev_b32_e32 v8, 3, v0
	s_waitcnt lgkmcnt(0)
	v_mov_b32_e32 v1, s1
	v_add_co_u32_e32 v0, vcc, s0, v6
	v_addc_co_u32_e32 v1, vcc, v1, v7, vcc
	ds_write_b64 v8, v[12:13]
	s_waitcnt lgkmcnt(0)
	s_barrier
	global_load_dwordx2 v[6:7], v[0:1], off
	ds_read_b64 v[8:9], v8
	s_waitcnt lgkmcnt(0)
	v_mul_f64 v[2:3], v[2:3], v[8:9]
	s_waitcnt vmcnt(0)
	v_fmac_f64_e32 v[2:3], v[4:5], v[6:7]
	global_store_dwordx2 v[0:1], v[2:3], off
.LBB47_32:
	s_endpgm
	.section	.rodata,"a",@progbits
	.p2align	6, 0x0
	.amdhsa_kernel _ZN9rocsparseL16sddmm_ell_kernelILi512ELi1EdlldddEEv20rocsparse_operation_S1_16rocsparse_order_S2_T3_S3_S3_T2_NS_24const_host_device_scalarIT1_EEPKT4_lPKT5_lS7_PT6_PKS3_21rocsparse_index_base_b
		.amdhsa_group_segment_fixed_size 4096
		.amdhsa_private_segment_fixed_size 0
		.amdhsa_kernarg_size 120
		.amdhsa_user_sgpr_count 6
		.amdhsa_user_sgpr_private_segment_buffer 1
		.amdhsa_user_sgpr_dispatch_ptr 0
		.amdhsa_user_sgpr_queue_ptr 0
		.amdhsa_user_sgpr_kernarg_segment_ptr 1
		.amdhsa_user_sgpr_dispatch_id 0
		.amdhsa_user_sgpr_flat_scratch_init 0
		.amdhsa_user_sgpr_kernarg_preload_length 0
		.amdhsa_user_sgpr_kernarg_preload_offset 0
		.amdhsa_user_sgpr_private_segment_size 0
		.amdhsa_uses_dynamic_stack 0
		.amdhsa_system_sgpr_private_segment_wavefront_offset 0
		.amdhsa_system_sgpr_workgroup_id_x 1
		.amdhsa_system_sgpr_workgroup_id_y 0
		.amdhsa_system_sgpr_workgroup_id_z 0
		.amdhsa_system_sgpr_workgroup_info 0
		.amdhsa_system_vgpr_workitem_id 0
		.amdhsa_next_free_vgpr 20
		.amdhsa_next_free_sgpr 22
		.amdhsa_accum_offset 20
		.amdhsa_reserve_vcc 1
		.amdhsa_reserve_flat_scratch 0
		.amdhsa_float_round_mode_32 0
		.amdhsa_float_round_mode_16_64 0
		.amdhsa_float_denorm_mode_32 3
		.amdhsa_float_denorm_mode_16_64 3
		.amdhsa_dx10_clamp 1
		.amdhsa_ieee_mode 1
		.amdhsa_fp16_overflow 0
		.amdhsa_tg_split 0
		.amdhsa_exception_fp_ieee_invalid_op 0
		.amdhsa_exception_fp_denorm_src 0
		.amdhsa_exception_fp_ieee_div_zero 0
		.amdhsa_exception_fp_ieee_overflow 0
		.amdhsa_exception_fp_ieee_underflow 0
		.amdhsa_exception_fp_ieee_inexact 0
		.amdhsa_exception_int_div_zero 0
	.end_amdhsa_kernel
	.section	.text._ZN9rocsparseL16sddmm_ell_kernelILi512ELi1EdlldddEEv20rocsparse_operation_S1_16rocsparse_order_S2_T3_S3_S3_T2_NS_24const_host_device_scalarIT1_EEPKT4_lPKT5_lS7_PT6_PKS3_21rocsparse_index_base_b,"axG",@progbits,_ZN9rocsparseL16sddmm_ell_kernelILi512ELi1EdlldddEEv20rocsparse_operation_S1_16rocsparse_order_S2_T3_S3_S3_T2_NS_24const_host_device_scalarIT1_EEPKT4_lPKT5_lS7_PT6_PKS3_21rocsparse_index_base_b,comdat
.Lfunc_end47:
	.size	_ZN9rocsparseL16sddmm_ell_kernelILi512ELi1EdlldddEEv20rocsparse_operation_S1_16rocsparse_order_S2_T3_S3_S3_T2_NS_24const_host_device_scalarIT1_EEPKT4_lPKT5_lS7_PT6_PKS3_21rocsparse_index_base_b, .Lfunc_end47-_ZN9rocsparseL16sddmm_ell_kernelILi512ELi1EdlldddEEv20rocsparse_operation_S1_16rocsparse_order_S2_T3_S3_S3_T2_NS_24const_host_device_scalarIT1_EEPKT4_lPKT5_lS7_PT6_PKS3_21rocsparse_index_base_b
                                        ; -- End function
	.section	.AMDGPU.csdata,"",@progbits
; Kernel info:
; codeLenInByte = 1604
; NumSgprs: 26
; NumVgprs: 20
; NumAgprs: 0
; TotalNumVgprs: 20
; ScratchSize: 0
; MemoryBound: 0
; FloatMode: 240
; IeeeMode: 1
; LDSByteSize: 4096 bytes/workgroup (compile time only)
; SGPRBlocks: 3
; VGPRBlocks: 2
; NumSGPRsForWavesPerEU: 26
; NumVGPRsForWavesPerEU: 20
; AccumOffset: 20
; Occupancy: 8
; WaveLimiterHint : 0
; COMPUTE_PGM_RSRC2:SCRATCH_EN: 0
; COMPUTE_PGM_RSRC2:USER_SGPR: 6
; COMPUTE_PGM_RSRC2:TRAP_HANDLER: 0
; COMPUTE_PGM_RSRC2:TGID_X_EN: 1
; COMPUTE_PGM_RSRC2:TGID_Y_EN: 0
; COMPUTE_PGM_RSRC2:TGID_Z_EN: 0
; COMPUTE_PGM_RSRC2:TIDIG_COMP_CNT: 0
; COMPUTE_PGM_RSRC3_GFX90A:ACCUM_OFFSET: 4
; COMPUTE_PGM_RSRC3_GFX90A:TG_SPLIT: 0
	.section	.text._ZN9rocsparseL23sddmm_ell_sample_kernelILi16ELi32E21rocsparse_complex_numIfElS2_EEvT2_S3_PKT3_lS3_PS4_PKS3_21rocsparse_index_base_,"axG",@progbits,_ZN9rocsparseL23sddmm_ell_sample_kernelILi16ELi32E21rocsparse_complex_numIfElS2_EEvT2_S3_PKT3_lS3_PS4_PKS3_21rocsparse_index_base_,comdat
	.globl	_ZN9rocsparseL23sddmm_ell_sample_kernelILi16ELi32E21rocsparse_complex_numIfElS2_EEvT2_S3_PKT3_lS3_PS4_PKS3_21rocsparse_index_base_ ; -- Begin function _ZN9rocsparseL23sddmm_ell_sample_kernelILi16ELi32E21rocsparse_complex_numIfElS2_EEvT2_S3_PKT3_lS3_PS4_PKS3_21rocsparse_index_base_
	.p2align	8
	.type	_ZN9rocsparseL23sddmm_ell_sample_kernelILi16ELi32E21rocsparse_complex_numIfElS2_EEvT2_S3_PKT3_lS3_PS4_PKS3_21rocsparse_index_base_,@function
_ZN9rocsparseL23sddmm_ell_sample_kernelILi16ELi32E21rocsparse_complex_numIfElS2_EEvT2_S3_PKT3_lS3_PS4_PKS3_21rocsparse_index_base_: ; @_ZN9rocsparseL23sddmm_ell_sample_kernelILi16ELi32E21rocsparse_complex_numIfElS2_EEvT2_S3_PKT3_lS3_PS4_PKS3_21rocsparse_index_base_
; %bb.0:
	s_load_dwordx4 s[0:3], s[4:5], 0x18
	v_lshrrev_b32_e32 v1, 5, v0
	v_lshl_or_b32 v2, s6, 4, v1
	v_mov_b32_e32 v1, 0
	v_mov_b32_e32 v3, v1
	s_waitcnt lgkmcnt(0)
	v_cmp_gt_i64_e32 vcc, s[2:3], v[2:3]
	s_and_saveexec_b64 s[2:3], vcc
	s_cbranch_execz .LBB48_6
; %bb.1:
	s_load_dwordx4 s[8:11], s[4:5], 0x0
	v_and_b32_e32 v0, 31, v0
	s_waitcnt lgkmcnt(0)
	v_cmp_gt_i64_e32 vcc, s[8:9], v[0:1]
	s_and_b64 exec, exec, vcc
	s_cbranch_execz .LBB48_6
; %bb.2:
	v_mad_u64_u32 v[4:5], s[2:3], v2, s8, v[0:1]
	s_load_dwordx2 s[16:17], s[4:5], 0x10
	s_load_dwordx4 s[12:15], s[4:5], 0x28
	s_load_dword s6, s[4:5], 0x38
	v_mov_b32_e32 v6, v5
	v_mad_u64_u32 v[2:3], s[2:3], v2, s9, v[6:7]
	v_mov_b32_e32 v5, v2
	v_lshlrev_b64 v[4:5], 3, v[4:5]
	s_waitcnt lgkmcnt(0)
	v_mov_b32_e32 v3, s15
	v_add_co_u32_e32 v2, vcc, s14, v4
	v_addc_co_u32_e32 v3, vcc, v3, v5, vcc
	v_mov_b32_e32 v6, s13
	v_add_co_u32_e32 v4, vcc, s12, v4
	v_addc_co_u32_e32 v5, vcc, v6, v5, vcc
	v_lshlrev_b32_e32 v6, 3, v0
	s_mov_b32 s7, 0
	v_mov_b32_e32 v7, s17
	v_add_co_u32_e32 v6, vcc, s16, v6
	s_lshl_b64 s[2:3], s[0:1], 3
	v_addc_co_u32_e32 v7, vcc, 0, v7, vcc
	s_mov_b64 s[4:5], 0
	v_mov_b32_e32 v10, s7
	s_branch .LBB48_4
.LBB48_3:                               ;   in Loop: Header=BB48_4 Depth=1
	s_or_b64 exec, exec, s[0:1]
	v_add_co_u32_e32 v0, vcc, 32, v0
	v_addc_co_u32_e32 v1, vcc, 0, v1, vcc
	v_add_co_u32_e32 v2, vcc, 0x100, v2
	v_addc_co_u32_e32 v3, vcc, 0, v3, vcc
	;; [unrolled: 2-line block ×3, first 2 shown]
	v_add_co_u32_e32 v6, vcc, 0x100, v6
	v_cmp_le_i64_e64 s[0:1], s[8:9], v[0:1]
	s_or_b64 s[4:5], s[0:1], s[4:5]
	v_addc_co_u32_e32 v7, vcc, 0, v7, vcc
	s_andn2_b64 exec, exec, s[4:5]
	s_cbranch_execz .LBB48_6
.LBB48_4:                               ; =>This Inner Loop Header: Depth=1
	global_load_dwordx2 v[8:9], v[2:3], off
	s_waitcnt vmcnt(0)
	v_subrev_co_u32_e32 v8, vcc, s6, v8
	v_subb_co_u32_e32 v9, vcc, v9, v10, vcc
	v_cmp_lt_i64_e32 vcc, -1, v[8:9]
	v_cmp_gt_i64_e64 s[0:1], s[10:11], v[8:9]
	s_and_b64 s[12:13], vcc, s[0:1]
	s_and_saveexec_b64 s[0:1], s[12:13]
	s_cbranch_execz .LBB48_3
; %bb.5:                                ;   in Loop: Header=BB48_4 Depth=1
	v_mad_u64_u32 v[12:13], s[12:13], s2, v8, v[6:7]
	v_mul_lo_u32 v9, s2, v9
	v_mul_lo_u32 v8, s3, v8
	v_add3_u32 v13, v8, v13, v9
	global_load_dwordx2 v[8:9], v[12:13], off
	s_waitcnt vmcnt(0)
	global_store_dwordx2 v[4:5], v[8:9], off
	s_branch .LBB48_3
.LBB48_6:
	s_endpgm
	.section	.rodata,"a",@progbits
	.p2align	6, 0x0
	.amdhsa_kernel _ZN9rocsparseL23sddmm_ell_sample_kernelILi16ELi32E21rocsparse_complex_numIfElS2_EEvT2_S3_PKT3_lS3_PS4_PKS3_21rocsparse_index_base_
		.amdhsa_group_segment_fixed_size 0
		.amdhsa_private_segment_fixed_size 0
		.amdhsa_kernarg_size 60
		.amdhsa_user_sgpr_count 6
		.amdhsa_user_sgpr_private_segment_buffer 1
		.amdhsa_user_sgpr_dispatch_ptr 0
		.amdhsa_user_sgpr_queue_ptr 0
		.amdhsa_user_sgpr_kernarg_segment_ptr 1
		.amdhsa_user_sgpr_dispatch_id 0
		.amdhsa_user_sgpr_flat_scratch_init 0
		.amdhsa_user_sgpr_kernarg_preload_length 0
		.amdhsa_user_sgpr_kernarg_preload_offset 0
		.amdhsa_user_sgpr_private_segment_size 0
		.amdhsa_uses_dynamic_stack 0
		.amdhsa_system_sgpr_private_segment_wavefront_offset 0
		.amdhsa_system_sgpr_workgroup_id_x 1
		.amdhsa_system_sgpr_workgroup_id_y 0
		.amdhsa_system_sgpr_workgroup_id_z 0
		.amdhsa_system_sgpr_workgroup_info 0
		.amdhsa_system_vgpr_workitem_id 0
		.amdhsa_next_free_vgpr 14
		.amdhsa_next_free_sgpr 18
		.amdhsa_accum_offset 16
		.amdhsa_reserve_vcc 1
		.amdhsa_reserve_flat_scratch 0
		.amdhsa_float_round_mode_32 0
		.amdhsa_float_round_mode_16_64 0
		.amdhsa_float_denorm_mode_32 3
		.amdhsa_float_denorm_mode_16_64 3
		.amdhsa_dx10_clamp 1
		.amdhsa_ieee_mode 1
		.amdhsa_fp16_overflow 0
		.amdhsa_tg_split 0
		.amdhsa_exception_fp_ieee_invalid_op 0
		.amdhsa_exception_fp_denorm_src 0
		.amdhsa_exception_fp_ieee_div_zero 0
		.amdhsa_exception_fp_ieee_overflow 0
		.amdhsa_exception_fp_ieee_underflow 0
		.amdhsa_exception_fp_ieee_inexact 0
		.amdhsa_exception_int_div_zero 0
	.end_amdhsa_kernel
	.section	.text._ZN9rocsparseL23sddmm_ell_sample_kernelILi16ELi32E21rocsparse_complex_numIfElS2_EEvT2_S3_PKT3_lS3_PS4_PKS3_21rocsparse_index_base_,"axG",@progbits,_ZN9rocsparseL23sddmm_ell_sample_kernelILi16ELi32E21rocsparse_complex_numIfElS2_EEvT2_S3_PKT3_lS3_PS4_PKS3_21rocsparse_index_base_,comdat
.Lfunc_end48:
	.size	_ZN9rocsparseL23sddmm_ell_sample_kernelILi16ELi32E21rocsparse_complex_numIfElS2_EEvT2_S3_PKT3_lS3_PS4_PKS3_21rocsparse_index_base_, .Lfunc_end48-_ZN9rocsparseL23sddmm_ell_sample_kernelILi16ELi32E21rocsparse_complex_numIfElS2_EEvT2_S3_PKT3_lS3_PS4_PKS3_21rocsparse_index_base_
                                        ; -- End function
	.section	.AMDGPU.csdata,"",@progbits
; Kernel info:
; codeLenInByte = 364
; NumSgprs: 22
; NumVgprs: 14
; NumAgprs: 0
; TotalNumVgprs: 14
; ScratchSize: 0
; MemoryBound: 0
; FloatMode: 240
; IeeeMode: 1
; LDSByteSize: 0 bytes/workgroup (compile time only)
; SGPRBlocks: 2
; VGPRBlocks: 1
; NumSGPRsForWavesPerEU: 22
; NumVGPRsForWavesPerEU: 14
; AccumOffset: 16
; Occupancy: 8
; WaveLimiterHint : 1
; COMPUTE_PGM_RSRC2:SCRATCH_EN: 0
; COMPUTE_PGM_RSRC2:USER_SGPR: 6
; COMPUTE_PGM_RSRC2:TRAP_HANDLER: 0
; COMPUTE_PGM_RSRC2:TGID_X_EN: 1
; COMPUTE_PGM_RSRC2:TGID_Y_EN: 0
; COMPUTE_PGM_RSRC2:TGID_Z_EN: 0
; COMPUTE_PGM_RSRC2:TIDIG_COMP_CNT: 0
; COMPUTE_PGM_RSRC3_GFX90A:ACCUM_OFFSET: 3
; COMPUTE_PGM_RSRC3_GFX90A:TG_SPLIT: 0
	.section	.text._ZN9rocsparseL23sddmm_ell_sample_kernelILi16ELi64E21rocsparse_complex_numIfElS2_EEvT2_S3_PKT3_lS3_PS4_PKS3_21rocsparse_index_base_,"axG",@progbits,_ZN9rocsparseL23sddmm_ell_sample_kernelILi16ELi64E21rocsparse_complex_numIfElS2_EEvT2_S3_PKT3_lS3_PS4_PKS3_21rocsparse_index_base_,comdat
	.globl	_ZN9rocsparseL23sddmm_ell_sample_kernelILi16ELi64E21rocsparse_complex_numIfElS2_EEvT2_S3_PKT3_lS3_PS4_PKS3_21rocsparse_index_base_ ; -- Begin function _ZN9rocsparseL23sddmm_ell_sample_kernelILi16ELi64E21rocsparse_complex_numIfElS2_EEvT2_S3_PKT3_lS3_PS4_PKS3_21rocsparse_index_base_
	.p2align	8
	.type	_ZN9rocsparseL23sddmm_ell_sample_kernelILi16ELi64E21rocsparse_complex_numIfElS2_EEvT2_S3_PKT3_lS3_PS4_PKS3_21rocsparse_index_base_,@function
_ZN9rocsparseL23sddmm_ell_sample_kernelILi16ELi64E21rocsparse_complex_numIfElS2_EEvT2_S3_PKT3_lS3_PS4_PKS3_21rocsparse_index_base_: ; @_ZN9rocsparseL23sddmm_ell_sample_kernelILi16ELi64E21rocsparse_complex_numIfElS2_EEvT2_S3_PKT3_lS3_PS4_PKS3_21rocsparse_index_base_
; %bb.0:
	s_load_dwordx4 s[0:3], s[4:5], 0x18
	v_lshrrev_b32_e32 v1, 6, v0
	v_lshl_or_b32 v2, s6, 4, v1
	v_mov_b32_e32 v1, 0
	v_mov_b32_e32 v3, v1
	s_waitcnt lgkmcnt(0)
	v_cmp_gt_i64_e32 vcc, s[2:3], v[2:3]
	s_and_saveexec_b64 s[2:3], vcc
	s_cbranch_execz .LBB49_6
; %bb.1:
	s_load_dwordx4 s[8:11], s[4:5], 0x0
	v_and_b32_e32 v0, 63, v0
	s_waitcnt lgkmcnt(0)
	v_cmp_gt_i64_e32 vcc, s[8:9], v[0:1]
	s_and_b64 exec, exec, vcc
	s_cbranch_execz .LBB49_6
; %bb.2:
	v_mad_u64_u32 v[4:5], s[2:3], v2, s8, v[0:1]
	s_load_dwordx2 s[16:17], s[4:5], 0x10
	s_load_dwordx4 s[12:15], s[4:5], 0x28
	s_load_dword s6, s[4:5], 0x38
	v_mov_b32_e32 v6, v5
	v_mad_u64_u32 v[2:3], s[2:3], v2, s9, v[6:7]
	v_mov_b32_e32 v5, v2
	v_lshlrev_b64 v[4:5], 3, v[4:5]
	s_waitcnt lgkmcnt(0)
	v_mov_b32_e32 v3, s15
	v_add_co_u32_e32 v2, vcc, s14, v4
	v_addc_co_u32_e32 v3, vcc, v3, v5, vcc
	v_mov_b32_e32 v6, s13
	v_add_co_u32_e32 v4, vcc, s12, v4
	v_addc_co_u32_e32 v5, vcc, v6, v5, vcc
	v_lshlrev_b32_e32 v6, 3, v0
	s_mov_b32 s7, 0
	v_mov_b32_e32 v7, s17
	v_add_co_u32_e32 v6, vcc, s16, v6
	s_lshl_b64 s[2:3], s[0:1], 3
	v_addc_co_u32_e32 v7, vcc, 0, v7, vcc
	s_mov_b64 s[4:5], 0
	v_mov_b32_e32 v10, s7
	s_branch .LBB49_4
.LBB49_3:                               ;   in Loop: Header=BB49_4 Depth=1
	s_or_b64 exec, exec, s[0:1]
	v_add_co_u32_e32 v0, vcc, 64, v0
	v_addc_co_u32_e32 v1, vcc, 0, v1, vcc
	v_add_co_u32_e32 v2, vcc, 0x200, v2
	v_addc_co_u32_e32 v3, vcc, 0, v3, vcc
	v_add_co_u32_e32 v4, vcc, 0x200, v4
	v_addc_co_u32_e32 v5, vcc, 0, v5, vcc
	v_add_co_u32_e32 v6, vcc, 0x200, v6
	v_cmp_le_i64_e64 s[0:1], s[8:9], v[0:1]
	s_or_b64 s[4:5], s[0:1], s[4:5]
	v_addc_co_u32_e32 v7, vcc, 0, v7, vcc
	s_andn2_b64 exec, exec, s[4:5]
	s_cbranch_execz .LBB49_6
.LBB49_4:                               ; =>This Inner Loop Header: Depth=1
	global_load_dwordx2 v[8:9], v[2:3], off
	s_waitcnt vmcnt(0)
	v_subrev_co_u32_e32 v8, vcc, s6, v8
	v_subb_co_u32_e32 v9, vcc, v9, v10, vcc
	v_cmp_lt_i64_e32 vcc, -1, v[8:9]
	v_cmp_gt_i64_e64 s[0:1], s[10:11], v[8:9]
	s_and_b64 s[12:13], vcc, s[0:1]
	s_and_saveexec_b64 s[0:1], s[12:13]
	s_cbranch_execz .LBB49_3
; %bb.5:                                ;   in Loop: Header=BB49_4 Depth=1
	v_mad_u64_u32 v[12:13], s[12:13], s2, v8, v[6:7]
	v_mul_lo_u32 v9, s2, v9
	v_mul_lo_u32 v8, s3, v8
	v_add3_u32 v13, v8, v13, v9
	global_load_dwordx2 v[8:9], v[12:13], off
	s_waitcnt vmcnt(0)
	global_store_dwordx2 v[4:5], v[8:9], off
	s_branch .LBB49_3
.LBB49_6:
	s_endpgm
	.section	.rodata,"a",@progbits
	.p2align	6, 0x0
	.amdhsa_kernel _ZN9rocsparseL23sddmm_ell_sample_kernelILi16ELi64E21rocsparse_complex_numIfElS2_EEvT2_S3_PKT3_lS3_PS4_PKS3_21rocsparse_index_base_
		.amdhsa_group_segment_fixed_size 0
		.amdhsa_private_segment_fixed_size 0
		.amdhsa_kernarg_size 60
		.amdhsa_user_sgpr_count 6
		.amdhsa_user_sgpr_private_segment_buffer 1
		.amdhsa_user_sgpr_dispatch_ptr 0
		.amdhsa_user_sgpr_queue_ptr 0
		.amdhsa_user_sgpr_kernarg_segment_ptr 1
		.amdhsa_user_sgpr_dispatch_id 0
		.amdhsa_user_sgpr_flat_scratch_init 0
		.amdhsa_user_sgpr_kernarg_preload_length 0
		.amdhsa_user_sgpr_kernarg_preload_offset 0
		.amdhsa_user_sgpr_private_segment_size 0
		.amdhsa_uses_dynamic_stack 0
		.amdhsa_system_sgpr_private_segment_wavefront_offset 0
		.amdhsa_system_sgpr_workgroup_id_x 1
		.amdhsa_system_sgpr_workgroup_id_y 0
		.amdhsa_system_sgpr_workgroup_id_z 0
		.amdhsa_system_sgpr_workgroup_info 0
		.amdhsa_system_vgpr_workitem_id 0
		.amdhsa_next_free_vgpr 14
		.amdhsa_next_free_sgpr 18
		.amdhsa_accum_offset 16
		.amdhsa_reserve_vcc 1
		.amdhsa_reserve_flat_scratch 0
		.amdhsa_float_round_mode_32 0
		.amdhsa_float_round_mode_16_64 0
		.amdhsa_float_denorm_mode_32 3
		.amdhsa_float_denorm_mode_16_64 3
		.amdhsa_dx10_clamp 1
		.amdhsa_ieee_mode 1
		.amdhsa_fp16_overflow 0
		.amdhsa_tg_split 0
		.amdhsa_exception_fp_ieee_invalid_op 0
		.amdhsa_exception_fp_denorm_src 0
		.amdhsa_exception_fp_ieee_div_zero 0
		.amdhsa_exception_fp_ieee_overflow 0
		.amdhsa_exception_fp_ieee_underflow 0
		.amdhsa_exception_fp_ieee_inexact 0
		.amdhsa_exception_int_div_zero 0
	.end_amdhsa_kernel
	.section	.text._ZN9rocsparseL23sddmm_ell_sample_kernelILi16ELi64E21rocsparse_complex_numIfElS2_EEvT2_S3_PKT3_lS3_PS4_PKS3_21rocsparse_index_base_,"axG",@progbits,_ZN9rocsparseL23sddmm_ell_sample_kernelILi16ELi64E21rocsparse_complex_numIfElS2_EEvT2_S3_PKT3_lS3_PS4_PKS3_21rocsparse_index_base_,comdat
.Lfunc_end49:
	.size	_ZN9rocsparseL23sddmm_ell_sample_kernelILi16ELi64E21rocsparse_complex_numIfElS2_EEvT2_S3_PKT3_lS3_PS4_PKS3_21rocsparse_index_base_, .Lfunc_end49-_ZN9rocsparseL23sddmm_ell_sample_kernelILi16ELi64E21rocsparse_complex_numIfElS2_EEvT2_S3_PKT3_lS3_PS4_PKS3_21rocsparse_index_base_
                                        ; -- End function
	.section	.AMDGPU.csdata,"",@progbits
; Kernel info:
; codeLenInByte = 364
; NumSgprs: 22
; NumVgprs: 14
; NumAgprs: 0
; TotalNumVgprs: 14
; ScratchSize: 0
; MemoryBound: 0
; FloatMode: 240
; IeeeMode: 1
; LDSByteSize: 0 bytes/workgroup (compile time only)
; SGPRBlocks: 2
; VGPRBlocks: 1
; NumSGPRsForWavesPerEU: 22
; NumVGPRsForWavesPerEU: 14
; AccumOffset: 16
; Occupancy: 8
; WaveLimiterHint : 1
; COMPUTE_PGM_RSRC2:SCRATCH_EN: 0
; COMPUTE_PGM_RSRC2:USER_SGPR: 6
; COMPUTE_PGM_RSRC2:TRAP_HANDLER: 0
; COMPUTE_PGM_RSRC2:TGID_X_EN: 1
; COMPUTE_PGM_RSRC2:TGID_Y_EN: 0
; COMPUTE_PGM_RSRC2:TGID_Z_EN: 0
; COMPUTE_PGM_RSRC2:TIDIG_COMP_CNT: 0
; COMPUTE_PGM_RSRC3_GFX90A:ACCUM_OFFSET: 3
; COMPUTE_PGM_RSRC3_GFX90A:TG_SPLIT: 0
	.section	.text._ZN9rocsparseL16sddmm_ell_kernelILi512ELi8E21rocsparse_complex_numIfEllS2_S2_S2_EEv20rocsparse_operation_S3_16rocsparse_order_S4_T3_S5_S5_T2_NS_24const_host_device_scalarIT1_EEPKT4_lPKT5_lS9_PT6_PKS5_21rocsparse_index_base_b,"axG",@progbits,_ZN9rocsparseL16sddmm_ell_kernelILi512ELi8E21rocsparse_complex_numIfEllS2_S2_S2_EEv20rocsparse_operation_S3_16rocsparse_order_S4_T3_S5_S5_T2_NS_24const_host_device_scalarIT1_EEPKT4_lPKT5_lS9_PT6_PKS5_21rocsparse_index_base_b,comdat
	.globl	_ZN9rocsparseL16sddmm_ell_kernelILi512ELi8E21rocsparse_complex_numIfEllS2_S2_S2_EEv20rocsparse_operation_S3_16rocsparse_order_S4_T3_S5_S5_T2_NS_24const_host_device_scalarIT1_EEPKT4_lPKT5_lS9_PT6_PKS5_21rocsparse_index_base_b ; -- Begin function _ZN9rocsparseL16sddmm_ell_kernelILi512ELi8E21rocsparse_complex_numIfEllS2_S2_S2_EEv20rocsparse_operation_S3_16rocsparse_order_S4_T3_S5_S5_T2_NS_24const_host_device_scalarIT1_EEPKT4_lPKT5_lS9_PT6_PKS5_21rocsparse_index_base_b
	.p2align	8
	.type	_ZN9rocsparseL16sddmm_ell_kernelILi512ELi8E21rocsparse_complex_numIfEllS2_S2_S2_EEv20rocsparse_operation_S3_16rocsparse_order_S4_T3_S5_S5_T2_NS_24const_host_device_scalarIT1_EEPKT4_lPKT5_lS9_PT6_PKS5_21rocsparse_index_base_b,@function
_ZN9rocsparseL16sddmm_ell_kernelILi512ELi8E21rocsparse_complex_numIfEllS2_S2_S2_EEv20rocsparse_operation_S3_16rocsparse_order_S4_T3_S5_S5_T2_NS_24const_host_device_scalarIT1_EEPKT4_lPKT5_lS9_PT6_PKS5_21rocsparse_index_base_b: ; @_ZN9rocsparseL16sddmm_ell_kernelILi512ELi8E21rocsparse_complex_numIfEllS2_S2_S2_EEv20rocsparse_operation_S3_16rocsparse_order_S4_T3_S5_S5_T2_NS_24const_host_device_scalarIT1_EEPKT4_lPKT5_lS9_PT6_PKS5_21rocsparse_index_base_b
; %bb.0:
	s_load_dwordx2 s[16:17], s[4:5], 0x70
	s_load_dwordx2 s[2:3], s[4:5], 0x30
	s_waitcnt lgkmcnt(0)
	s_bitcmp1_b32 s17, 0
	s_cselect_b64 s[0:1], -1, 0
	s_xor_b64 s[8:9], s[0:1], -1
	s_and_b64 vcc, exec, s[0:1]
	v_mov_b32_e32 v1, s2
	s_cbranch_vccnz .LBB50_2
; %bb.1:
	v_pk_mov_b32 v[2:3], s[2:3], s[2:3] op_sel:[0,1]
	flat_load_dword v1, v[2:3]
.LBB50_2:
	s_load_dwordx4 s[12:15], s[4:5], 0x50
	v_cndmask_b32_e64 v2, 0, 1, s[8:9]
	v_cmp_ne_u32_e64 s[0:1], 1, v2
	s_andn2_b64 vcc, exec, s[8:9]
	v_mov_b32_e32 v3, s3
	s_cbranch_vccz .LBB50_19
; %bb.3:
	s_and_b64 vcc, exec, s[0:1]
	s_waitcnt lgkmcnt(0)
	v_mov_b32_e32 v4, s14
	s_cbranch_vccz .LBB50_20
.LBB50_4:
	s_and_b64 vcc, exec, s[0:1]
	v_mov_b32_e32 v6, s15
	s_cbranch_vccnz .LBB50_6
.LBB50_5:
	v_pk_mov_b32 v[6:7], s[14:15], s[14:15] op_sel:[0,1]
	flat_load_dword v6, v[6:7] offset:4
.LBB50_6:
	s_waitcnt vmcnt(0)
	v_or_b32_e32 v2, v1, v3
	v_and_b32_e32 v2, 0x7fffffff, v2
	v_cmp_eq_u32_e32 vcc, 0, v2
	s_mov_b64 s[0:1], -1
	s_and_saveexec_b64 s[2:3], vcc
	s_cbranch_execz .LBB50_8
; %bb.7:
	s_waitcnt lgkmcnt(0)
	v_cmp_neq_f32_e32 vcc, 1.0, v4
	v_cmp_neq_f32_e64 s[0:1], 0, v6
	s_or_b64 s[0:1], vcc, s[0:1]
	s_orn2_b64 s[0:1], s[0:1], exec
.LBB50_8:
	s_or_b64 exec, exec, s[2:3]
	s_and_saveexec_b64 s[2:3], s[0:1]
	s_cbranch_execz .LBB50_45
; %bb.9:
	s_load_dwordx4 s[8:11], s[4:5], 0x20
	v_lshrrev_b32_e32 v2, 3, v0
	v_lshl_or_b32 v8, s6, 6, v2
	v_mov_b32_e32 v9, 0
	s_waitcnt lgkmcnt(0)
	v_cmp_gt_i64_e32 vcc, s[10:11], v[8:9]
	s_and_b64 exec, exec, vcc
	s_cbranch_execz .LBB50_45
; %bb.10:
	s_load_dwordx2 s[10:11], s[4:5], 0x10
	s_load_dwordx2 s[6:7], s[4:5], 0x68
	s_mov_b32 s0, 0
                                        ; implicit-def: $vgpr14_vgpr15
	s_waitcnt lgkmcnt(0)
	s_mov_b32 s1, s11
	s_cmp_lg_u64 s[0:1], 0
	s_cselect_b64 s[0:1], -1, 0
	s_and_saveexec_b64 s[2:3], s[0:1]
	s_xor_b64 s[14:15], exec, s[2:3]
	s_cbranch_execz .LBB50_12
; %bb.11:
	s_ashr_i32 s0, s11, 31
	s_add_u32 s2, s10, s0
	s_mov_b32 s1, s0
	s_addc_u32 s3, s11, s0
	s_xor_b64 s[18:19], s[2:3], s[0:1]
	v_cvt_f32_u32_e32 v5, s18
	v_cvt_f32_u32_e32 v7, s19
	s_sub_u32 s0, 0, s18
	s_subb_u32 s1, 0, s19
	v_madmk_f32 v5, v7, 0x4f800000, v5
	v_rcp_f32_e32 v5, v5
	v_mul_f32_e32 v5, 0x5f7ffffc, v5
	v_mul_f32_e32 v7, 0x2f800000, v5
	v_trunc_f32_e32 v7, v7
	v_madmk_f32 v5, v7, 0xcf800000, v5
	v_cvt_u32_f32_e32 v7, v7
	v_cvt_u32_f32_e32 v5, v5
	v_mul_lo_u32 v10, s0, v7
	v_mul_hi_u32 v12, s0, v5
	v_mul_lo_u32 v11, s1, v5
	v_add_u32_e32 v10, v12, v10
	v_mul_lo_u32 v13, s0, v5
	v_add_u32_e32 v10, v10, v11
	v_mul_lo_u32 v12, v5, v10
	v_mul_hi_u32 v14, v5, v13
	v_mul_hi_u32 v11, v5, v10
	v_add_co_u32_e32 v12, vcc, v14, v12
	v_addc_co_u32_e32 v11, vcc, 0, v11, vcc
	v_mul_hi_u32 v15, v7, v13
	v_mul_lo_u32 v13, v7, v13
	v_add_co_u32_e32 v12, vcc, v12, v13
	v_mul_hi_u32 v14, v7, v10
	v_addc_co_u32_e32 v11, vcc, v11, v15, vcc
	v_addc_co_u32_e32 v12, vcc, 0, v14, vcc
	v_mul_lo_u32 v10, v7, v10
	v_add_co_u32_e32 v10, vcc, v11, v10
	v_addc_co_u32_e32 v11, vcc, 0, v12, vcc
	v_add_co_u32_e32 v5, vcc, v5, v10
	v_addc_co_u32_e32 v7, vcc, v7, v11, vcc
	v_mul_lo_u32 v10, s0, v7
	v_mul_hi_u32 v11, s0, v5
	v_add_u32_e32 v10, v11, v10
	v_mul_lo_u32 v11, s1, v5
	v_add_u32_e32 v10, v10, v11
	v_mul_lo_u32 v12, s0, v5
	v_mul_hi_u32 v13, v7, v12
	v_mul_lo_u32 v14, v7, v12
	v_mul_lo_u32 v16, v5, v10
	v_mul_hi_u32 v12, v5, v12
	v_mul_hi_u32 v15, v5, v10
	v_add_co_u32_e32 v12, vcc, v12, v16
	v_addc_co_u32_e32 v15, vcc, 0, v15, vcc
	v_add_co_u32_e32 v12, vcc, v12, v14
	v_mul_hi_u32 v11, v7, v10
	v_addc_co_u32_e32 v12, vcc, v15, v13, vcc
	v_addc_co_u32_e32 v11, vcc, 0, v11, vcc
	v_mul_lo_u32 v10, v7, v10
	v_add_co_u32_e32 v10, vcc, v12, v10
	v_addc_co_u32_e32 v11, vcc, 0, v11, vcc
	v_add_co_u32_e32 v5, vcc, v5, v10
	v_addc_co_u32_e32 v7, vcc, v7, v11, vcc
	v_mad_u64_u32 v[10:11], s[0:1], v8, v7, 0
	v_mul_hi_u32 v12, v8, v5
	v_add_co_u32_e32 v14, vcc, v12, v10
	v_addc_co_u32_e32 v15, vcc, 0, v11, vcc
	v_mad_u64_u32 v[12:13], s[0:1], 0, v5, 0
	v_add_co_u32_e32 v5, vcc, v14, v12
	v_mad_u64_u32 v[10:11], s[0:1], 0, v7, 0
	v_addc_co_u32_e32 v5, vcc, v15, v13, vcc
	v_addc_co_u32_e32 v7, vcc, 0, v11, vcc
	v_add_co_u32_e32 v5, vcc, v5, v10
	v_addc_co_u32_e32 v7, vcc, 0, v7, vcc
	v_mul_lo_u32 v12, s19, v5
	v_mul_lo_u32 v7, s18, v7
	v_mad_u64_u32 v[10:11], s[0:1], s18, v5, 0
	v_add3_u32 v5, v11, v7, v12
	v_sub_u32_e32 v7, 0, v5
	v_mov_b32_e32 v11, s19
	v_sub_co_u32_e32 v10, vcc, v8, v10
	v_subb_co_u32_e64 v7, s[0:1], v7, v11, vcc
	v_subrev_co_u32_e64 v12, s[0:1], s18, v10
	v_subbrev_co_u32_e64 v13, s[2:3], 0, v7, s[0:1]
	v_cmp_le_u32_e64 s[2:3], s19, v13
	v_cndmask_b32_e64 v14, 0, -1, s[2:3]
	v_cmp_le_u32_e64 s[2:3], s18, v12
	v_subb_co_u32_e64 v7, s[0:1], v7, v11, s[0:1]
	v_cndmask_b32_e64 v15, 0, -1, s[2:3]
	v_cmp_eq_u32_e64 s[2:3], s19, v13
	v_subrev_co_u32_e64 v11, s[0:1], s18, v12
	v_cndmask_b32_e64 v14, v14, v15, s[2:3]
	v_subbrev_co_u32_e64 v7, s[0:1], 0, v7, s[0:1]
	v_subb_co_u32_e32 v5, vcc, 0, v5, vcc
	v_cmp_ne_u32_e64 s[0:1], 0, v14
	v_cmp_le_u32_e32 vcc, s19, v5
	v_cndmask_b32_e64 v7, v13, v7, s[0:1]
	v_cndmask_b32_e64 v13, 0, -1, vcc
	v_cmp_le_u32_e32 vcc, s18, v10
	v_cndmask_b32_e64 v14, 0, -1, vcc
	v_cmp_eq_u32_e32 vcc, s19, v5
	v_cndmask_b32_e32 v13, v13, v14, vcc
	v_cmp_ne_u32_e32 vcc, 0, v13
	v_cndmask_b32_e32 v5, v5, v7, vcc
	v_cndmask_b32_e64 v7, v12, v11, s[0:1]
	v_cndmask_b32_e32 v7, v10, v7, vcc
	v_subrev_co_u32_e32 v14, vcc, 0, v7
	v_subbrev_co_u32_e32 v15, vcc, 0, v5, vcc
.LBB50_12:
	s_andn2_saveexec_b64 s[0:1], s[14:15]
	s_cbranch_execz .LBB50_14
; %bb.13:
	v_cvt_f32_u32_e32 v5, s10
	s_sub_i32 s2, 0, s10
	v_mov_b32_e32 v15, 0
	v_rcp_iflag_f32_e32 v5, v5
	v_mul_f32_e32 v5, 0x4f7ffffe, v5
	v_cvt_u32_f32_e32 v5, v5
	v_mul_lo_u32 v7, s2, v5
	v_mul_hi_u32 v7, v5, v7
	v_add_u32_e32 v5, v5, v7
	v_mul_hi_u32 v5, v8, v5
	v_mul_lo_u32 v5, v5, s10
	v_sub_u32_e32 v5, v8, v5
	v_subrev_u32_e32 v7, s10, v5
	v_cmp_le_u32_e32 vcc, s10, v5
	v_cndmask_b32_e32 v5, v5, v7, vcc
	v_subrev_u32_e32 v7, s10, v5
	v_cmp_le_u32_e32 vcc, s10, v5
	v_cndmask_b32_e32 v14, v5, v7, vcc
.LBB50_14:
	s_or_b64 exec, exec, s[0:1]
	v_lshlrev_b64 v[8:9], 3, v[8:9]
	v_mov_b32_e32 v5, s7
	v_add_co_u32_e32 v10, vcc, s6, v8
	v_addc_co_u32_e32 v11, vcc, v5, v9, vcc
	global_load_dwordx2 v[10:11], v[10:11], off
	s_mov_b64 s[18:19], -1
	s_waitcnt vmcnt(0)
	v_subrev_co_u32_e32 v10, vcc, s16, v10
	v_subbrev_co_u32_e32 v11, vcc, 0, v11, vcc
	v_cmp_lt_i64_e32 vcc, -1, v[10:11]
	s_and_b64 exec, exec, vcc
	s_cbranch_execz .LBB50_45
; %bb.15:
	s_load_dwordx4 s[0:3], s[4:5], 0x0
	s_load_dwordx2 s[6:7], s[4:5], 0x40
	s_waitcnt lgkmcnt(0)
	s_cmp_eq_u32 s2, 1
	s_cselect_b64 s[10:11], -1, 0
	s_cmpk_eq_i32 s0, 0x6f
	s_cselect_b64 s[14:15], -1, 0
	s_cmpk_lg_i32 s0, 0x6f
	s_cselect_b64 s[16:17], -1, 0
	s_cmp_lg_u32 s2, 1
	s_cbranch_scc0 .LBB50_21
; %bb.16:
	s_andn2_b64 vcc, exec, s[14:15]
	v_pk_mov_b32 v[12:13], v[14:15], v[14:15] op_sel:[0,1]
	s_cbranch_vccnz .LBB50_18
; %bb.17:
	v_mul_lo_u32 v5, v15, s6
	v_mul_lo_u32 v7, v14, s7
	v_mad_u64_u32 v[12:13], s[18:19], v14, s6, 0
	v_add3_u32 v13, v13, v7, v5
.LBB50_18:
	s_cbranch_execz .LBB50_22
	s_branch .LBB50_25
.LBB50_19:
	v_pk_mov_b32 v[2:3], s[2:3], s[2:3] op_sel:[0,1]
	flat_load_dword v3, v[2:3] offset:4
	s_and_b64 vcc, exec, s[0:1]
	s_waitcnt lgkmcnt(0)
	v_mov_b32_e32 v4, s14
	s_cbranch_vccnz .LBB50_4
.LBB50_20:
	v_pk_mov_b32 v[4:5], s[14:15], s[14:15] op_sel:[0,1]
	flat_load_dword v4, v[4:5]
	s_and_b64 vcc, exec, s[0:1]
	v_mov_b32_e32 v6, s15
	s_cbranch_vccz .LBB50_5
	s_branch .LBB50_6
.LBB50_21:
                                        ; implicit-def: $vgpr12_vgpr13
	s_andn2_b64 vcc, exec, s[18:19]
	s_cbranch_vccnz .LBB50_25
.LBB50_22:
	s_andn2_b64 vcc, exec, s[16:17]
	s_cbranch_vccnz .LBB50_24
; %bb.23:
	v_mul_lo_u32 v5, v15, s6
	v_mul_lo_u32 v7, v14, s7
	v_mad_u64_u32 v[14:15], s[16:17], v14, s6, 0
	v_add3_u32 v15, v15, v7, v5
.LBB50_24:
	v_pk_mov_b32 v[12:13], v[14:15], v[14:15] op_sel:[0,1]
.LBB50_25:
	s_cmp_eq_u32 s3, 1
	s_cselect_b64 s[16:17], -1, 0
	s_cmpk_eq_i32 s1, 0x6f
	s_cselect_b64 s[18:19], -1, 0
	s_cmpk_lg_i32 s1, 0x6f
	s_cselect_b64 s[0:1], -1, 0
	s_cmp_lg_u32 s3, 1
	s_cbranch_scc0 .LBB50_29
; %bb.26:
	s_andn2_b64 vcc, exec, s[0:1]
	v_pk_mov_b32 v[16:17], v[10:11], v[10:11] op_sel:[0,1]
	s_cbranch_vccnz .LBB50_28
; %bb.27:
	v_mul_lo_u32 v5, v11, s12
	v_mul_lo_u32 v7, v10, s13
	v_mad_u64_u32 v[16:17], s[0:1], v10, s12, 0
	v_add3_u32 v17, v17, v7, v5
.LBB50_28:
	s_cbranch_execz .LBB50_30
	s_branch .LBB50_33
.LBB50_29:
                                        ; implicit-def: $vgpr16_vgpr17
.LBB50_30:
	s_andn2_b64 vcc, exec, s[18:19]
	s_cbranch_vccnz .LBB50_32
; %bb.31:
	v_mul_lo_u32 v5, v11, s12
	v_mul_lo_u32 v7, v10, s13
	v_mad_u64_u32 v[10:11], s[0:1], v10, s12, 0
	v_add3_u32 v11, v11, v7, v5
.LBB50_32:
	v_pk_mov_b32 v[16:17], v[10:11], v[10:11] op_sel:[0,1]
.LBB50_33:
	s_load_dwordx2 s[0:1], s[4:5], 0x60
	v_and_b32_e32 v10, 7, v0
	v_mov_b32_e32 v11, 0
	v_cmp_gt_i64_e32 vcc, s[8:9], v[10:11]
	v_mov_b32_e32 v15, v11
	v_mov_b32_e32 v14, v11
	s_and_saveexec_b64 s[2:3], vcc
	s_cbranch_execz .LBB50_37
; %bb.34:
	s_load_dwordx2 s[20:21], s[4:5], 0x38
	s_load_dwordx2 s[22:23], s[4:5], 0x48
	s_xor_b64 s[4:5], s[14:15], s[10:11]
	s_and_b64 s[4:5], s[4:5], exec
	s_cselect_b32 s7, 0, s7
	s_cselect_b32 s6, 1, s6
	s_xor_b64 s[4:5], s[18:19], s[16:17]
	s_and_b64 s[4:5], s[4:5], exec
	s_cselect_b32 s4, s12, 1
	v_mad_u64_u32 v[14:15], s[10:11], s4, v10, 0
	s_cselect_b32 s5, s13, 0
	v_mov_b32_e32 v0, v15
	v_mad_u64_u32 v[18:19], s[10:11], s5, v10, v[0:1]
	v_mov_b32_e32 v15, v18
	v_lshlrev_b64 v[14:15], 3, v[14:15]
	v_lshlrev_b64 v[16:17], 3, v[16:17]
	v_add_co_u32_e32 v0, vcc, v14, v16
	v_addc_co_u32_e32 v5, vcc, v15, v17, vcc
	s_waitcnt lgkmcnt(0)
	v_mov_b32_e32 v7, s23
	v_add_co_u32_e32 v0, vcc, s22, v0
	v_addc_co_u32_e32 v5, vcc, v5, v7, vcc
	v_mad_u64_u32 v[14:15], s[10:11], s6, v10, 0
	v_add_co_u32_e32 v16, vcc, 4, v0
	v_mov_b32_e32 v0, v15
	v_mad_u64_u32 v[18:19], s[10:11], s7, v10, v[0:1]
	v_mov_b32_e32 v15, v18
	v_addc_co_u32_e32 v17, vcc, 0, v5, vcc
	v_lshlrev_b64 v[14:15], 3, v[14:15]
	v_lshlrev_b64 v[12:13], 3, v[12:13]
	v_add_co_u32_e32 v0, vcc, v14, v12
	v_addc_co_u32_e32 v5, vcc, v15, v13, vcc
	s_lshl_b64 s[4:5], s[4:5], 6
	v_mov_b32_e32 v7, s21
	v_add_co_u32_e32 v12, vcc, s20, v0
	s_lshl_b64 s[10:11], s[6:7], 6
	v_mov_b32_e32 v14, 0
	v_addc_co_u32_e32 v13, vcc, v7, v5, vcc
	s_mov_b64 s[6:7], 0
	v_mov_b32_e32 v0, s5
	v_mov_b32_e32 v5, s11
	v_pk_mov_b32 v[18:19], v[10:11], v[10:11] op_sel:[0,1]
	v_mov_b32_e32 v15, v14
.LBB50_35:                              ; =>This Inner Loop Header: Depth=1
	global_load_dwordx2 v[20:21], v[12:13], off
	global_load_dwordx2 v[22:23], v[16:17], off offset:-4
	v_add_co_u32_e32 v18, vcc, 8, v18
	v_addc_co_u32_e32 v19, vcc, 0, v19, vcc
	v_add_co_u32_e32 v16, vcc, s4, v16
	v_addc_co_u32_e32 v17, vcc, v17, v0, vcc
	;; [unrolled: 2-line block ×3, first 2 shown]
	v_cmp_le_i64_e32 vcc, s[8:9], v[18:19]
	s_or_b64 s[6:7], vcc, s[6:7]
	s_waitcnt vmcnt(0)
	v_pk_mul_f32 v[24:25], v[22:23], v[20:21] op_sel:[1,1] op_sel_hi:[1,0] neg_lo:[0,1]
	v_pk_fma_f32 v[20:21], v[20:21], v[22:23], v[24:25] op_sel_hi:[1,0,1]
	v_pk_add_f32 v[14:15], v[14:15], v[20:21]
	s_andn2_b64 exec, exec, s[6:7]
	s_cbranch_execnz .LBB50_35
; %bb.36:
	s_or_b64 exec, exec, s[6:7]
.LBB50_37:
	s_or_b64 exec, exec, s[2:3]
	v_lshlrev_b32_e32 v0, 3, v10
	v_lshl_or_b32 v0, v2, 6, v0
	v_cmp_gt_u32_e32 vcc, 4, v10
	ds_write_b64 v0, v[14:15]
	s_waitcnt lgkmcnt(0)
	s_barrier
	s_and_saveexec_b64 s[2:3], vcc
	s_cbranch_execz .LBB50_39
; %bb.38:
	ds_read2_b64 v[12:15], v0 offset1:4
	s_waitcnt lgkmcnt(0)
	v_pk_add_f32 v[12:13], v[14:15], v[12:13]
	ds_write_b64 v0, v[12:13]
.LBB50_39:
	s_or_b64 exec, exec, s[2:3]
	v_cmp_gt_u32_e32 vcc, 2, v10
	s_waitcnt lgkmcnt(0)
	s_barrier
	s_and_saveexec_b64 s[2:3], vcc
	s_cbranch_execz .LBB50_41
; %bb.40:
	ds_read2_b64 v[12:15], v0 offset1:2
	s_waitcnt lgkmcnt(0)
	v_pk_add_f32 v[12:13], v[14:15], v[12:13]
	ds_write_b64 v0, v[12:13]
.LBB50_41:
	s_or_b64 exec, exec, s[2:3]
	v_cmp_eq_u32_e32 vcc, 0, v10
	v_lshlrev_b32_e32 v2, 6, v2
	s_waitcnt lgkmcnt(0)
	s_barrier
	s_and_saveexec_b64 s[2:3], vcc
	s_cbranch_execz .LBB50_43
; %bb.42:
	ds_read_b64 v[10:11], v2 offset:8
	ds_read_b64 v[12:13], v0
	s_waitcnt lgkmcnt(0)
	v_pk_add_f32 v[10:11], v[10:11], v[12:13]
	ds_write_b64 v0, v[10:11]
.LBB50_43:
	s_or_b64 exec, exec, s[2:3]
	s_waitcnt lgkmcnt(0)
	s_barrier
	s_and_b64 exec, exec, vcc
	s_cbranch_execz .LBB50_45
; %bb.44:
	v_mov_b32_e32 v0, s1
	v_add_co_u32_e32 v8, vcc, s0, v8
	v_addc_co_u32_e32 v9, vcc, v0, v9, vcc
	global_load_dwordx2 v[10:11], v[8:9], off
	ds_read_b64 v[12:13], v2
	v_xor_b32_e32 v15, 0x80000000, v3
	s_waitcnt lgkmcnt(0)
	v_mov_b32_e32 v7, v13
	v_mov_b32_e32 v5, v12
	s_waitcnt vmcnt(0)
	v_mov_b32_e32 v14, v10
	v_mov_b32_e32 v0, v11
	v_pk_mul_f32 v[12:13], v[6:7], v[14:15]
	v_pk_fma_f32 v[12:13], v[0:1], v[4:5], v[12:13]
	v_xor_b32_e32 v0, 0x80000000, v11
	v_mov_b32_e32 v2, v10
	v_pk_mul_f32 v[0:1], v[6:7], v[0:1]
	v_pk_fma_f32 v[0:1], v[2:3], v[4:5], v[0:1]
	v_pk_add_f32 v[0:1], v[12:13], v[0:1] op_sel:[0,1] op_sel_hi:[1,0]
	v_mov_b32_e32 v2, v1
	v_mov_b32_e32 v3, v0
	global_store_dwordx2 v[8:9], v[2:3], off
.LBB50_45:
	s_endpgm
	.section	.rodata,"a",@progbits
	.p2align	6, 0x0
	.amdhsa_kernel _ZN9rocsparseL16sddmm_ell_kernelILi512ELi8E21rocsparse_complex_numIfEllS2_S2_S2_EEv20rocsparse_operation_S3_16rocsparse_order_S4_T3_S5_S5_T2_NS_24const_host_device_scalarIT1_EEPKT4_lPKT5_lS9_PT6_PKS5_21rocsparse_index_base_b
		.amdhsa_group_segment_fixed_size 4096
		.amdhsa_private_segment_fixed_size 0
		.amdhsa_kernarg_size 120
		.amdhsa_user_sgpr_count 6
		.amdhsa_user_sgpr_private_segment_buffer 1
		.amdhsa_user_sgpr_dispatch_ptr 0
		.amdhsa_user_sgpr_queue_ptr 0
		.amdhsa_user_sgpr_kernarg_segment_ptr 1
		.amdhsa_user_sgpr_dispatch_id 0
		.amdhsa_user_sgpr_flat_scratch_init 0
		.amdhsa_user_sgpr_kernarg_preload_length 0
		.amdhsa_user_sgpr_kernarg_preload_offset 0
		.amdhsa_user_sgpr_private_segment_size 0
		.amdhsa_uses_dynamic_stack 0
		.amdhsa_system_sgpr_private_segment_wavefront_offset 0
		.amdhsa_system_sgpr_workgroup_id_x 1
		.amdhsa_system_sgpr_workgroup_id_y 0
		.amdhsa_system_sgpr_workgroup_id_z 0
		.amdhsa_system_sgpr_workgroup_info 0
		.amdhsa_system_vgpr_workitem_id 0
		.amdhsa_next_free_vgpr 26
		.amdhsa_next_free_sgpr 24
		.amdhsa_accum_offset 28
		.amdhsa_reserve_vcc 1
		.amdhsa_reserve_flat_scratch 0
		.amdhsa_float_round_mode_32 0
		.amdhsa_float_round_mode_16_64 0
		.amdhsa_float_denorm_mode_32 3
		.amdhsa_float_denorm_mode_16_64 3
		.amdhsa_dx10_clamp 1
		.amdhsa_ieee_mode 1
		.amdhsa_fp16_overflow 0
		.amdhsa_tg_split 0
		.amdhsa_exception_fp_ieee_invalid_op 0
		.amdhsa_exception_fp_denorm_src 0
		.amdhsa_exception_fp_ieee_div_zero 0
		.amdhsa_exception_fp_ieee_overflow 0
		.amdhsa_exception_fp_ieee_underflow 0
		.amdhsa_exception_fp_ieee_inexact 0
		.amdhsa_exception_int_div_zero 0
	.end_amdhsa_kernel
	.section	.text._ZN9rocsparseL16sddmm_ell_kernelILi512ELi8E21rocsparse_complex_numIfEllS2_S2_S2_EEv20rocsparse_operation_S3_16rocsparse_order_S4_T3_S5_S5_T2_NS_24const_host_device_scalarIT1_EEPKT4_lPKT5_lS9_PT6_PKS5_21rocsparse_index_base_b,"axG",@progbits,_ZN9rocsparseL16sddmm_ell_kernelILi512ELi8E21rocsparse_complex_numIfEllS2_S2_S2_EEv20rocsparse_operation_S3_16rocsparse_order_S4_T3_S5_S5_T2_NS_24const_host_device_scalarIT1_EEPKT4_lPKT5_lS9_PT6_PKS5_21rocsparse_index_base_b,comdat
.Lfunc_end50:
	.size	_ZN9rocsparseL16sddmm_ell_kernelILi512ELi8E21rocsparse_complex_numIfEllS2_S2_S2_EEv20rocsparse_operation_S3_16rocsparse_order_S4_T3_S5_S5_T2_NS_24const_host_device_scalarIT1_EEPKT4_lPKT5_lS9_PT6_PKS5_21rocsparse_index_base_b, .Lfunc_end50-_ZN9rocsparseL16sddmm_ell_kernelILi512ELi8E21rocsparse_complex_numIfEllS2_S2_S2_EEv20rocsparse_operation_S3_16rocsparse_order_S4_T3_S5_S5_T2_NS_24const_host_device_scalarIT1_EEPKT4_lPKT5_lS9_PT6_PKS5_21rocsparse_index_base_b
                                        ; -- End function
	.section	.AMDGPU.csdata,"",@progbits
; Kernel info:
; codeLenInByte = 2136
; NumSgprs: 28
; NumVgprs: 26
; NumAgprs: 0
; TotalNumVgprs: 26
; ScratchSize: 0
; MemoryBound: 0
; FloatMode: 240
; IeeeMode: 1
; LDSByteSize: 4096 bytes/workgroup (compile time only)
; SGPRBlocks: 3
; VGPRBlocks: 3
; NumSGPRsForWavesPerEU: 28
; NumVGPRsForWavesPerEU: 26
; AccumOffset: 28
; Occupancy: 8
; WaveLimiterHint : 0
; COMPUTE_PGM_RSRC2:SCRATCH_EN: 0
; COMPUTE_PGM_RSRC2:USER_SGPR: 6
; COMPUTE_PGM_RSRC2:TRAP_HANDLER: 0
; COMPUTE_PGM_RSRC2:TGID_X_EN: 1
; COMPUTE_PGM_RSRC2:TGID_Y_EN: 0
; COMPUTE_PGM_RSRC2:TGID_Z_EN: 0
; COMPUTE_PGM_RSRC2:TIDIG_COMP_CNT: 0
; COMPUTE_PGM_RSRC3_GFX90A:ACCUM_OFFSET: 6
; COMPUTE_PGM_RSRC3_GFX90A:TG_SPLIT: 0
	.section	.text._ZN9rocsparseL16sddmm_ell_kernelILi512ELi4E21rocsparse_complex_numIfEllS2_S2_S2_EEv20rocsparse_operation_S3_16rocsparse_order_S4_T3_S5_S5_T2_NS_24const_host_device_scalarIT1_EEPKT4_lPKT5_lS9_PT6_PKS5_21rocsparse_index_base_b,"axG",@progbits,_ZN9rocsparseL16sddmm_ell_kernelILi512ELi4E21rocsparse_complex_numIfEllS2_S2_S2_EEv20rocsparse_operation_S3_16rocsparse_order_S4_T3_S5_S5_T2_NS_24const_host_device_scalarIT1_EEPKT4_lPKT5_lS9_PT6_PKS5_21rocsparse_index_base_b,comdat
	.globl	_ZN9rocsparseL16sddmm_ell_kernelILi512ELi4E21rocsparse_complex_numIfEllS2_S2_S2_EEv20rocsparse_operation_S3_16rocsparse_order_S4_T3_S5_S5_T2_NS_24const_host_device_scalarIT1_EEPKT4_lPKT5_lS9_PT6_PKS5_21rocsparse_index_base_b ; -- Begin function _ZN9rocsparseL16sddmm_ell_kernelILi512ELi4E21rocsparse_complex_numIfEllS2_S2_S2_EEv20rocsparse_operation_S3_16rocsparse_order_S4_T3_S5_S5_T2_NS_24const_host_device_scalarIT1_EEPKT4_lPKT5_lS9_PT6_PKS5_21rocsparse_index_base_b
	.p2align	8
	.type	_ZN9rocsparseL16sddmm_ell_kernelILi512ELi4E21rocsparse_complex_numIfEllS2_S2_S2_EEv20rocsparse_operation_S3_16rocsparse_order_S4_T3_S5_S5_T2_NS_24const_host_device_scalarIT1_EEPKT4_lPKT5_lS9_PT6_PKS5_21rocsparse_index_base_b,@function
_ZN9rocsparseL16sddmm_ell_kernelILi512ELi4E21rocsparse_complex_numIfEllS2_S2_S2_EEv20rocsparse_operation_S3_16rocsparse_order_S4_T3_S5_S5_T2_NS_24const_host_device_scalarIT1_EEPKT4_lPKT5_lS9_PT6_PKS5_21rocsparse_index_base_b: ; @_ZN9rocsparseL16sddmm_ell_kernelILi512ELi4E21rocsparse_complex_numIfEllS2_S2_S2_EEv20rocsparse_operation_S3_16rocsparse_order_S4_T3_S5_S5_T2_NS_24const_host_device_scalarIT1_EEPKT4_lPKT5_lS9_PT6_PKS5_21rocsparse_index_base_b
; %bb.0:
	s_load_dwordx2 s[16:17], s[4:5], 0x70
	s_load_dwordx2 s[2:3], s[4:5], 0x30
	s_waitcnt lgkmcnt(0)
	s_bitcmp1_b32 s17, 0
	s_cselect_b64 s[0:1], -1, 0
	s_xor_b64 s[8:9], s[0:1], -1
	s_and_b64 vcc, exec, s[0:1]
	v_mov_b32_e32 v1, s2
	s_cbranch_vccnz .LBB51_2
; %bb.1:
	v_pk_mov_b32 v[2:3], s[2:3], s[2:3] op_sel:[0,1]
	flat_load_dword v1, v[2:3]
.LBB51_2:
	s_load_dwordx4 s[12:15], s[4:5], 0x50
	v_cndmask_b32_e64 v2, 0, 1, s[8:9]
	v_cmp_ne_u32_e64 s[0:1], 1, v2
	s_andn2_b64 vcc, exec, s[8:9]
	v_mov_b32_e32 v3, s3
	s_cbranch_vccz .LBB51_19
; %bb.3:
	s_and_b64 vcc, exec, s[0:1]
	s_waitcnt lgkmcnt(0)
	v_mov_b32_e32 v4, s14
	s_cbranch_vccz .LBB51_20
.LBB51_4:
	s_and_b64 vcc, exec, s[0:1]
	v_mov_b32_e32 v6, s15
	s_cbranch_vccnz .LBB51_6
.LBB51_5:
	v_pk_mov_b32 v[6:7], s[14:15], s[14:15] op_sel:[0,1]
	flat_load_dword v6, v[6:7] offset:4
.LBB51_6:
	s_waitcnt vmcnt(0)
	v_or_b32_e32 v2, v1, v3
	v_and_b32_e32 v2, 0x7fffffff, v2
	v_cmp_eq_u32_e32 vcc, 0, v2
	s_mov_b64 s[0:1], -1
	s_and_saveexec_b64 s[2:3], vcc
	s_cbranch_execz .LBB51_8
; %bb.7:
	s_waitcnt lgkmcnt(0)
	v_cmp_neq_f32_e32 vcc, 1.0, v4
	v_cmp_neq_f32_e64 s[0:1], 0, v6
	s_or_b64 s[0:1], vcc, s[0:1]
	s_orn2_b64 s[0:1], s[0:1], exec
.LBB51_8:
	s_or_b64 exec, exec, s[2:3]
	s_and_saveexec_b64 s[2:3], s[0:1]
	s_cbranch_execz .LBB51_43
; %bb.9:
	s_load_dwordx4 s[8:11], s[4:5], 0x20
	v_lshrrev_b32_e32 v2, 2, v0
	v_lshl_or_b32 v8, s6, 7, v2
	v_mov_b32_e32 v9, 0
	s_waitcnt lgkmcnt(0)
	v_cmp_gt_i64_e32 vcc, s[10:11], v[8:9]
	s_and_b64 exec, exec, vcc
	s_cbranch_execz .LBB51_43
; %bb.10:
	s_load_dwordx2 s[10:11], s[4:5], 0x10
	s_load_dwordx2 s[6:7], s[4:5], 0x68
	s_mov_b32 s0, 0
                                        ; implicit-def: $vgpr14_vgpr15
	s_waitcnt lgkmcnt(0)
	s_mov_b32 s1, s11
	s_cmp_lg_u64 s[0:1], 0
	s_cselect_b64 s[0:1], -1, 0
	s_and_saveexec_b64 s[2:3], s[0:1]
	s_xor_b64 s[14:15], exec, s[2:3]
	s_cbranch_execz .LBB51_12
; %bb.11:
	s_ashr_i32 s0, s11, 31
	s_add_u32 s2, s10, s0
	s_mov_b32 s1, s0
	s_addc_u32 s3, s11, s0
	s_xor_b64 s[18:19], s[2:3], s[0:1]
	v_cvt_f32_u32_e32 v5, s18
	v_cvt_f32_u32_e32 v7, s19
	s_sub_u32 s0, 0, s18
	s_subb_u32 s1, 0, s19
	v_madmk_f32 v5, v7, 0x4f800000, v5
	v_rcp_f32_e32 v5, v5
	v_mul_f32_e32 v5, 0x5f7ffffc, v5
	v_mul_f32_e32 v7, 0x2f800000, v5
	v_trunc_f32_e32 v7, v7
	v_madmk_f32 v5, v7, 0xcf800000, v5
	v_cvt_u32_f32_e32 v7, v7
	v_cvt_u32_f32_e32 v5, v5
	v_mul_lo_u32 v10, s0, v7
	v_mul_hi_u32 v12, s0, v5
	v_mul_lo_u32 v11, s1, v5
	v_add_u32_e32 v10, v12, v10
	v_mul_lo_u32 v13, s0, v5
	v_add_u32_e32 v10, v10, v11
	v_mul_lo_u32 v12, v5, v10
	v_mul_hi_u32 v14, v5, v13
	v_mul_hi_u32 v11, v5, v10
	v_add_co_u32_e32 v12, vcc, v14, v12
	v_addc_co_u32_e32 v11, vcc, 0, v11, vcc
	v_mul_hi_u32 v15, v7, v13
	v_mul_lo_u32 v13, v7, v13
	v_add_co_u32_e32 v12, vcc, v12, v13
	v_mul_hi_u32 v14, v7, v10
	v_addc_co_u32_e32 v11, vcc, v11, v15, vcc
	v_addc_co_u32_e32 v12, vcc, 0, v14, vcc
	v_mul_lo_u32 v10, v7, v10
	v_add_co_u32_e32 v10, vcc, v11, v10
	v_addc_co_u32_e32 v11, vcc, 0, v12, vcc
	v_add_co_u32_e32 v5, vcc, v5, v10
	v_addc_co_u32_e32 v7, vcc, v7, v11, vcc
	v_mul_lo_u32 v10, s0, v7
	v_mul_hi_u32 v11, s0, v5
	v_add_u32_e32 v10, v11, v10
	v_mul_lo_u32 v11, s1, v5
	v_add_u32_e32 v10, v10, v11
	v_mul_lo_u32 v12, s0, v5
	v_mul_hi_u32 v13, v7, v12
	v_mul_lo_u32 v14, v7, v12
	v_mul_lo_u32 v16, v5, v10
	v_mul_hi_u32 v12, v5, v12
	v_mul_hi_u32 v15, v5, v10
	v_add_co_u32_e32 v12, vcc, v12, v16
	v_addc_co_u32_e32 v15, vcc, 0, v15, vcc
	v_add_co_u32_e32 v12, vcc, v12, v14
	v_mul_hi_u32 v11, v7, v10
	v_addc_co_u32_e32 v12, vcc, v15, v13, vcc
	v_addc_co_u32_e32 v11, vcc, 0, v11, vcc
	v_mul_lo_u32 v10, v7, v10
	v_add_co_u32_e32 v10, vcc, v12, v10
	v_addc_co_u32_e32 v11, vcc, 0, v11, vcc
	v_add_co_u32_e32 v5, vcc, v5, v10
	v_addc_co_u32_e32 v7, vcc, v7, v11, vcc
	v_mad_u64_u32 v[10:11], s[0:1], v8, v7, 0
	v_mul_hi_u32 v12, v8, v5
	v_add_co_u32_e32 v14, vcc, v12, v10
	v_addc_co_u32_e32 v15, vcc, 0, v11, vcc
	v_mad_u64_u32 v[12:13], s[0:1], 0, v5, 0
	v_add_co_u32_e32 v5, vcc, v14, v12
	v_mad_u64_u32 v[10:11], s[0:1], 0, v7, 0
	v_addc_co_u32_e32 v5, vcc, v15, v13, vcc
	v_addc_co_u32_e32 v7, vcc, 0, v11, vcc
	v_add_co_u32_e32 v5, vcc, v5, v10
	v_addc_co_u32_e32 v7, vcc, 0, v7, vcc
	v_mul_lo_u32 v12, s19, v5
	v_mul_lo_u32 v7, s18, v7
	v_mad_u64_u32 v[10:11], s[0:1], s18, v5, 0
	v_add3_u32 v5, v11, v7, v12
	v_sub_u32_e32 v7, 0, v5
	v_mov_b32_e32 v11, s19
	v_sub_co_u32_e32 v10, vcc, v8, v10
	v_subb_co_u32_e64 v7, s[0:1], v7, v11, vcc
	v_subrev_co_u32_e64 v12, s[0:1], s18, v10
	v_subbrev_co_u32_e64 v13, s[2:3], 0, v7, s[0:1]
	v_cmp_le_u32_e64 s[2:3], s19, v13
	v_cndmask_b32_e64 v14, 0, -1, s[2:3]
	v_cmp_le_u32_e64 s[2:3], s18, v12
	v_subb_co_u32_e64 v7, s[0:1], v7, v11, s[0:1]
	v_cndmask_b32_e64 v15, 0, -1, s[2:3]
	v_cmp_eq_u32_e64 s[2:3], s19, v13
	v_subrev_co_u32_e64 v11, s[0:1], s18, v12
	v_cndmask_b32_e64 v14, v14, v15, s[2:3]
	v_subbrev_co_u32_e64 v7, s[0:1], 0, v7, s[0:1]
	v_subb_co_u32_e32 v5, vcc, 0, v5, vcc
	v_cmp_ne_u32_e64 s[0:1], 0, v14
	v_cmp_le_u32_e32 vcc, s19, v5
	v_cndmask_b32_e64 v7, v13, v7, s[0:1]
	v_cndmask_b32_e64 v13, 0, -1, vcc
	v_cmp_le_u32_e32 vcc, s18, v10
	v_cndmask_b32_e64 v14, 0, -1, vcc
	v_cmp_eq_u32_e32 vcc, s19, v5
	v_cndmask_b32_e32 v13, v13, v14, vcc
	v_cmp_ne_u32_e32 vcc, 0, v13
	v_cndmask_b32_e32 v5, v5, v7, vcc
	v_cndmask_b32_e64 v7, v12, v11, s[0:1]
	v_cndmask_b32_e32 v7, v10, v7, vcc
	v_subrev_co_u32_e32 v14, vcc, 0, v7
	v_subbrev_co_u32_e32 v15, vcc, 0, v5, vcc
.LBB51_12:
	s_andn2_saveexec_b64 s[0:1], s[14:15]
	s_cbranch_execz .LBB51_14
; %bb.13:
	v_cvt_f32_u32_e32 v5, s10
	s_sub_i32 s2, 0, s10
	v_mov_b32_e32 v15, 0
	v_rcp_iflag_f32_e32 v5, v5
	v_mul_f32_e32 v5, 0x4f7ffffe, v5
	v_cvt_u32_f32_e32 v5, v5
	v_mul_lo_u32 v7, s2, v5
	v_mul_hi_u32 v7, v5, v7
	v_add_u32_e32 v5, v5, v7
	v_mul_hi_u32 v5, v8, v5
	v_mul_lo_u32 v5, v5, s10
	v_sub_u32_e32 v5, v8, v5
	v_subrev_u32_e32 v7, s10, v5
	v_cmp_le_u32_e32 vcc, s10, v5
	v_cndmask_b32_e32 v5, v5, v7, vcc
	v_subrev_u32_e32 v7, s10, v5
	v_cmp_le_u32_e32 vcc, s10, v5
	v_cndmask_b32_e32 v14, v5, v7, vcc
.LBB51_14:
	s_or_b64 exec, exec, s[0:1]
	v_lshlrev_b64 v[8:9], 3, v[8:9]
	v_mov_b32_e32 v5, s7
	v_add_co_u32_e32 v10, vcc, s6, v8
	v_addc_co_u32_e32 v11, vcc, v5, v9, vcc
	global_load_dwordx2 v[10:11], v[10:11], off
	s_mov_b64 s[18:19], -1
	s_waitcnt vmcnt(0)
	v_subrev_co_u32_e32 v10, vcc, s16, v10
	v_subbrev_co_u32_e32 v11, vcc, 0, v11, vcc
	v_cmp_lt_i64_e32 vcc, -1, v[10:11]
	s_and_b64 exec, exec, vcc
	s_cbranch_execz .LBB51_43
; %bb.15:
	s_load_dwordx4 s[0:3], s[4:5], 0x0
	s_load_dwordx2 s[6:7], s[4:5], 0x40
	s_waitcnt lgkmcnt(0)
	s_cmp_eq_u32 s2, 1
	s_cselect_b64 s[10:11], -1, 0
	s_cmpk_eq_i32 s0, 0x6f
	s_cselect_b64 s[14:15], -1, 0
	s_cmpk_lg_i32 s0, 0x6f
	s_cselect_b64 s[16:17], -1, 0
	s_cmp_lg_u32 s2, 1
	s_cbranch_scc0 .LBB51_21
; %bb.16:
	s_andn2_b64 vcc, exec, s[14:15]
	v_pk_mov_b32 v[12:13], v[14:15], v[14:15] op_sel:[0,1]
	s_cbranch_vccnz .LBB51_18
; %bb.17:
	v_mul_lo_u32 v5, v15, s6
	v_mul_lo_u32 v7, v14, s7
	v_mad_u64_u32 v[12:13], s[18:19], v14, s6, 0
	v_add3_u32 v13, v13, v7, v5
.LBB51_18:
	s_cbranch_execz .LBB51_22
	s_branch .LBB51_25
.LBB51_19:
	v_pk_mov_b32 v[2:3], s[2:3], s[2:3] op_sel:[0,1]
	flat_load_dword v3, v[2:3] offset:4
	s_and_b64 vcc, exec, s[0:1]
	s_waitcnt lgkmcnt(0)
	v_mov_b32_e32 v4, s14
	s_cbranch_vccnz .LBB51_4
.LBB51_20:
	v_pk_mov_b32 v[4:5], s[14:15], s[14:15] op_sel:[0,1]
	flat_load_dword v4, v[4:5]
	s_and_b64 vcc, exec, s[0:1]
	v_mov_b32_e32 v6, s15
	s_cbranch_vccz .LBB51_5
	s_branch .LBB51_6
.LBB51_21:
                                        ; implicit-def: $vgpr12_vgpr13
	s_andn2_b64 vcc, exec, s[18:19]
	s_cbranch_vccnz .LBB51_25
.LBB51_22:
	s_andn2_b64 vcc, exec, s[16:17]
	s_cbranch_vccnz .LBB51_24
; %bb.23:
	v_mul_lo_u32 v5, v15, s6
	v_mul_lo_u32 v7, v14, s7
	v_mad_u64_u32 v[14:15], s[16:17], v14, s6, 0
	v_add3_u32 v15, v15, v7, v5
.LBB51_24:
	v_pk_mov_b32 v[12:13], v[14:15], v[14:15] op_sel:[0,1]
.LBB51_25:
	s_cmp_eq_u32 s3, 1
	s_cselect_b64 s[16:17], -1, 0
	s_cmpk_eq_i32 s1, 0x6f
	s_cselect_b64 s[18:19], -1, 0
	s_cmpk_lg_i32 s1, 0x6f
	s_cselect_b64 s[0:1], -1, 0
	s_cmp_lg_u32 s3, 1
	s_cbranch_scc0 .LBB51_29
; %bb.26:
	s_andn2_b64 vcc, exec, s[0:1]
	v_pk_mov_b32 v[16:17], v[10:11], v[10:11] op_sel:[0,1]
	s_cbranch_vccnz .LBB51_28
; %bb.27:
	v_mul_lo_u32 v5, v11, s12
	v_mul_lo_u32 v7, v10, s13
	v_mad_u64_u32 v[16:17], s[0:1], v10, s12, 0
	v_add3_u32 v17, v17, v7, v5
.LBB51_28:
	s_cbranch_execz .LBB51_30
	s_branch .LBB51_33
.LBB51_29:
                                        ; implicit-def: $vgpr16_vgpr17
.LBB51_30:
	s_andn2_b64 vcc, exec, s[18:19]
	s_cbranch_vccnz .LBB51_32
; %bb.31:
	v_mul_lo_u32 v5, v11, s12
	v_mul_lo_u32 v7, v10, s13
	v_mad_u64_u32 v[10:11], s[0:1], v10, s12, 0
	v_add3_u32 v11, v11, v7, v5
.LBB51_32:
	v_pk_mov_b32 v[16:17], v[10:11], v[10:11] op_sel:[0,1]
.LBB51_33:
	s_load_dwordx2 s[0:1], s[4:5], 0x60
	v_and_b32_e32 v10, 3, v0
	v_mov_b32_e32 v11, 0
	v_cmp_gt_i64_e32 vcc, s[8:9], v[10:11]
	v_mov_b32_e32 v15, v11
	v_mov_b32_e32 v14, v11
	s_and_saveexec_b64 s[2:3], vcc
	s_cbranch_execz .LBB51_37
; %bb.34:
	s_load_dwordx2 s[20:21], s[4:5], 0x38
	s_load_dwordx2 s[22:23], s[4:5], 0x48
	s_xor_b64 s[4:5], s[14:15], s[10:11]
	s_and_b64 s[4:5], s[4:5], exec
	s_cselect_b32 s7, 0, s7
	s_cselect_b32 s6, 1, s6
	s_xor_b64 s[4:5], s[18:19], s[16:17]
	s_and_b64 s[4:5], s[4:5], exec
	s_cselect_b32 s4, s12, 1
	v_mad_u64_u32 v[14:15], s[10:11], s4, v10, 0
	s_cselect_b32 s5, s13, 0
	v_mov_b32_e32 v0, v15
	v_mad_u64_u32 v[18:19], s[10:11], s5, v10, v[0:1]
	v_mov_b32_e32 v15, v18
	v_lshlrev_b64 v[14:15], 3, v[14:15]
	v_lshlrev_b64 v[16:17], 3, v[16:17]
	v_add_co_u32_e32 v0, vcc, v14, v16
	v_addc_co_u32_e32 v5, vcc, v15, v17, vcc
	s_waitcnt lgkmcnt(0)
	v_mov_b32_e32 v7, s23
	v_add_co_u32_e32 v0, vcc, s22, v0
	v_addc_co_u32_e32 v5, vcc, v5, v7, vcc
	v_mad_u64_u32 v[14:15], s[10:11], s6, v10, 0
	v_add_co_u32_e32 v16, vcc, 4, v0
	v_mov_b32_e32 v0, v15
	v_mad_u64_u32 v[18:19], s[10:11], s7, v10, v[0:1]
	v_mov_b32_e32 v15, v18
	v_addc_co_u32_e32 v17, vcc, 0, v5, vcc
	v_lshlrev_b64 v[14:15], 3, v[14:15]
	v_lshlrev_b64 v[12:13], 3, v[12:13]
	v_add_co_u32_e32 v0, vcc, v14, v12
	v_addc_co_u32_e32 v5, vcc, v15, v13, vcc
	s_lshl_b64 s[4:5], s[4:5], 5
	v_mov_b32_e32 v7, s21
	v_add_co_u32_e32 v12, vcc, s20, v0
	s_lshl_b64 s[10:11], s[6:7], 5
	v_mov_b32_e32 v14, 0
	v_addc_co_u32_e32 v13, vcc, v7, v5, vcc
	s_mov_b64 s[6:7], 0
	v_mov_b32_e32 v0, s5
	v_mov_b32_e32 v5, s11
	v_pk_mov_b32 v[18:19], v[10:11], v[10:11] op_sel:[0,1]
	v_mov_b32_e32 v15, v14
.LBB51_35:                              ; =>This Inner Loop Header: Depth=1
	global_load_dwordx2 v[20:21], v[12:13], off
	global_load_dwordx2 v[22:23], v[16:17], off offset:-4
	v_add_co_u32_e32 v18, vcc, 4, v18
	v_addc_co_u32_e32 v19, vcc, 0, v19, vcc
	v_add_co_u32_e32 v16, vcc, s4, v16
	v_addc_co_u32_e32 v17, vcc, v17, v0, vcc
	;; [unrolled: 2-line block ×3, first 2 shown]
	v_cmp_le_i64_e32 vcc, s[8:9], v[18:19]
	s_or_b64 s[6:7], vcc, s[6:7]
	s_waitcnt vmcnt(0)
	v_pk_mul_f32 v[24:25], v[22:23], v[20:21] op_sel:[1,1] op_sel_hi:[1,0] neg_lo:[0,1]
	v_pk_fma_f32 v[20:21], v[20:21], v[22:23], v[24:25] op_sel_hi:[1,0,1]
	v_pk_add_f32 v[14:15], v[14:15], v[20:21]
	s_andn2_b64 exec, exec, s[6:7]
	s_cbranch_execnz .LBB51_35
; %bb.36:
	s_or_b64 exec, exec, s[6:7]
.LBB51_37:
	s_or_b64 exec, exec, s[2:3]
	v_lshlrev_b32_e32 v0, 3, v10
	v_lshl_or_b32 v0, v2, 5, v0
	v_cmp_gt_u32_e32 vcc, 2, v10
	ds_write_b64 v0, v[14:15]
	s_waitcnt lgkmcnt(0)
	s_barrier
	s_and_saveexec_b64 s[2:3], vcc
	s_cbranch_execz .LBB51_39
; %bb.38:
	ds_read2_b64 v[12:15], v0 offset1:2
	s_waitcnt lgkmcnt(0)
	v_pk_add_f32 v[12:13], v[14:15], v[12:13]
	ds_write_b64 v0, v[12:13]
.LBB51_39:
	s_or_b64 exec, exec, s[2:3]
	v_cmp_eq_u32_e32 vcc, 0, v10
	v_lshlrev_b32_e32 v2, 5, v2
	s_waitcnt lgkmcnt(0)
	s_barrier
	s_and_saveexec_b64 s[2:3], vcc
	s_cbranch_execz .LBB51_41
; %bb.40:
	ds_read_b64 v[10:11], v2 offset:8
	ds_read_b64 v[12:13], v0
	s_waitcnt lgkmcnt(0)
	v_pk_add_f32 v[10:11], v[10:11], v[12:13]
	ds_write_b64 v0, v[10:11]
.LBB51_41:
	s_or_b64 exec, exec, s[2:3]
	s_waitcnt lgkmcnt(0)
	s_barrier
	s_and_b64 exec, exec, vcc
	s_cbranch_execz .LBB51_43
; %bb.42:
	v_mov_b32_e32 v0, s1
	v_add_co_u32_e32 v8, vcc, s0, v8
	v_addc_co_u32_e32 v9, vcc, v0, v9, vcc
	global_load_dwordx2 v[10:11], v[8:9], off
	ds_read_b64 v[12:13], v2
	v_xor_b32_e32 v15, 0x80000000, v3
	s_waitcnt lgkmcnt(0)
	v_mov_b32_e32 v7, v13
	v_mov_b32_e32 v5, v12
	s_waitcnt vmcnt(0)
	v_mov_b32_e32 v14, v10
	v_mov_b32_e32 v0, v11
	v_pk_mul_f32 v[12:13], v[6:7], v[14:15]
	v_pk_fma_f32 v[12:13], v[0:1], v[4:5], v[12:13]
	v_xor_b32_e32 v0, 0x80000000, v11
	v_mov_b32_e32 v2, v10
	v_pk_mul_f32 v[0:1], v[6:7], v[0:1]
	v_pk_fma_f32 v[0:1], v[2:3], v[4:5], v[0:1]
	v_pk_add_f32 v[0:1], v[12:13], v[0:1] op_sel:[0,1] op_sel_hi:[1,0]
	v_mov_b32_e32 v2, v1
	v_mov_b32_e32 v3, v0
	global_store_dwordx2 v[8:9], v[2:3], off
.LBB51_43:
	s_endpgm
	.section	.rodata,"a",@progbits
	.p2align	6, 0x0
	.amdhsa_kernel _ZN9rocsparseL16sddmm_ell_kernelILi512ELi4E21rocsparse_complex_numIfEllS2_S2_S2_EEv20rocsparse_operation_S3_16rocsparse_order_S4_T3_S5_S5_T2_NS_24const_host_device_scalarIT1_EEPKT4_lPKT5_lS9_PT6_PKS5_21rocsparse_index_base_b
		.amdhsa_group_segment_fixed_size 4096
		.amdhsa_private_segment_fixed_size 0
		.amdhsa_kernarg_size 120
		.amdhsa_user_sgpr_count 6
		.amdhsa_user_sgpr_private_segment_buffer 1
		.amdhsa_user_sgpr_dispatch_ptr 0
		.amdhsa_user_sgpr_queue_ptr 0
		.amdhsa_user_sgpr_kernarg_segment_ptr 1
		.amdhsa_user_sgpr_dispatch_id 0
		.amdhsa_user_sgpr_flat_scratch_init 0
		.amdhsa_user_sgpr_kernarg_preload_length 0
		.amdhsa_user_sgpr_kernarg_preload_offset 0
		.amdhsa_user_sgpr_private_segment_size 0
		.amdhsa_uses_dynamic_stack 0
		.amdhsa_system_sgpr_private_segment_wavefront_offset 0
		.amdhsa_system_sgpr_workgroup_id_x 1
		.amdhsa_system_sgpr_workgroup_id_y 0
		.amdhsa_system_sgpr_workgroup_id_z 0
		.amdhsa_system_sgpr_workgroup_info 0
		.amdhsa_system_vgpr_workitem_id 0
		.amdhsa_next_free_vgpr 26
		.amdhsa_next_free_sgpr 24
		.amdhsa_accum_offset 28
		.amdhsa_reserve_vcc 1
		.amdhsa_reserve_flat_scratch 0
		.amdhsa_float_round_mode_32 0
		.amdhsa_float_round_mode_16_64 0
		.amdhsa_float_denorm_mode_32 3
		.amdhsa_float_denorm_mode_16_64 3
		.amdhsa_dx10_clamp 1
		.amdhsa_ieee_mode 1
		.amdhsa_fp16_overflow 0
		.amdhsa_tg_split 0
		.amdhsa_exception_fp_ieee_invalid_op 0
		.amdhsa_exception_fp_denorm_src 0
		.amdhsa_exception_fp_ieee_div_zero 0
		.amdhsa_exception_fp_ieee_overflow 0
		.amdhsa_exception_fp_ieee_underflow 0
		.amdhsa_exception_fp_ieee_inexact 0
		.amdhsa_exception_int_div_zero 0
	.end_amdhsa_kernel
	.section	.text._ZN9rocsparseL16sddmm_ell_kernelILi512ELi4E21rocsparse_complex_numIfEllS2_S2_S2_EEv20rocsparse_operation_S3_16rocsparse_order_S4_T3_S5_S5_T2_NS_24const_host_device_scalarIT1_EEPKT4_lPKT5_lS9_PT6_PKS5_21rocsparse_index_base_b,"axG",@progbits,_ZN9rocsparseL16sddmm_ell_kernelILi512ELi4E21rocsparse_complex_numIfEllS2_S2_S2_EEv20rocsparse_operation_S3_16rocsparse_order_S4_T3_S5_S5_T2_NS_24const_host_device_scalarIT1_EEPKT4_lPKT5_lS9_PT6_PKS5_21rocsparse_index_base_b,comdat
.Lfunc_end51:
	.size	_ZN9rocsparseL16sddmm_ell_kernelILi512ELi4E21rocsparse_complex_numIfEllS2_S2_S2_EEv20rocsparse_operation_S3_16rocsparse_order_S4_T3_S5_S5_T2_NS_24const_host_device_scalarIT1_EEPKT4_lPKT5_lS9_PT6_PKS5_21rocsparse_index_base_b, .Lfunc_end51-_ZN9rocsparseL16sddmm_ell_kernelILi512ELi4E21rocsparse_complex_numIfEllS2_S2_S2_EEv20rocsparse_operation_S3_16rocsparse_order_S4_T3_S5_S5_T2_NS_24const_host_device_scalarIT1_EEPKT4_lPKT5_lS9_PT6_PKS5_21rocsparse_index_base_b
                                        ; -- End function
	.section	.AMDGPU.csdata,"",@progbits
; Kernel info:
; codeLenInByte = 2084
; NumSgprs: 28
; NumVgprs: 26
; NumAgprs: 0
; TotalNumVgprs: 26
; ScratchSize: 0
; MemoryBound: 0
; FloatMode: 240
; IeeeMode: 1
; LDSByteSize: 4096 bytes/workgroup (compile time only)
; SGPRBlocks: 3
; VGPRBlocks: 3
; NumSGPRsForWavesPerEU: 28
; NumVGPRsForWavesPerEU: 26
; AccumOffset: 28
; Occupancy: 8
; WaveLimiterHint : 0
; COMPUTE_PGM_RSRC2:SCRATCH_EN: 0
; COMPUTE_PGM_RSRC2:USER_SGPR: 6
; COMPUTE_PGM_RSRC2:TRAP_HANDLER: 0
; COMPUTE_PGM_RSRC2:TGID_X_EN: 1
; COMPUTE_PGM_RSRC2:TGID_Y_EN: 0
; COMPUTE_PGM_RSRC2:TGID_Z_EN: 0
; COMPUTE_PGM_RSRC2:TIDIG_COMP_CNT: 0
; COMPUTE_PGM_RSRC3_GFX90A:ACCUM_OFFSET: 6
; COMPUTE_PGM_RSRC3_GFX90A:TG_SPLIT: 0
	.section	.text._ZN9rocsparseL16sddmm_ell_kernelILi512ELi2E21rocsparse_complex_numIfEllS2_S2_S2_EEv20rocsparse_operation_S3_16rocsparse_order_S4_T3_S5_S5_T2_NS_24const_host_device_scalarIT1_EEPKT4_lPKT5_lS9_PT6_PKS5_21rocsparse_index_base_b,"axG",@progbits,_ZN9rocsparseL16sddmm_ell_kernelILi512ELi2E21rocsparse_complex_numIfEllS2_S2_S2_EEv20rocsparse_operation_S3_16rocsparse_order_S4_T3_S5_S5_T2_NS_24const_host_device_scalarIT1_EEPKT4_lPKT5_lS9_PT6_PKS5_21rocsparse_index_base_b,comdat
	.globl	_ZN9rocsparseL16sddmm_ell_kernelILi512ELi2E21rocsparse_complex_numIfEllS2_S2_S2_EEv20rocsparse_operation_S3_16rocsparse_order_S4_T3_S5_S5_T2_NS_24const_host_device_scalarIT1_EEPKT4_lPKT5_lS9_PT6_PKS5_21rocsparse_index_base_b ; -- Begin function _ZN9rocsparseL16sddmm_ell_kernelILi512ELi2E21rocsparse_complex_numIfEllS2_S2_S2_EEv20rocsparse_operation_S3_16rocsparse_order_S4_T3_S5_S5_T2_NS_24const_host_device_scalarIT1_EEPKT4_lPKT5_lS9_PT6_PKS5_21rocsparse_index_base_b
	.p2align	8
	.type	_ZN9rocsparseL16sddmm_ell_kernelILi512ELi2E21rocsparse_complex_numIfEllS2_S2_S2_EEv20rocsparse_operation_S3_16rocsparse_order_S4_T3_S5_S5_T2_NS_24const_host_device_scalarIT1_EEPKT4_lPKT5_lS9_PT6_PKS5_21rocsparse_index_base_b,@function
_ZN9rocsparseL16sddmm_ell_kernelILi512ELi2E21rocsparse_complex_numIfEllS2_S2_S2_EEv20rocsparse_operation_S3_16rocsparse_order_S4_T3_S5_S5_T2_NS_24const_host_device_scalarIT1_EEPKT4_lPKT5_lS9_PT6_PKS5_21rocsparse_index_base_b: ; @_ZN9rocsparseL16sddmm_ell_kernelILi512ELi2E21rocsparse_complex_numIfEllS2_S2_S2_EEv20rocsparse_operation_S3_16rocsparse_order_S4_T3_S5_S5_T2_NS_24const_host_device_scalarIT1_EEPKT4_lPKT5_lS9_PT6_PKS5_21rocsparse_index_base_b
; %bb.0:
	s_load_dwordx2 s[16:17], s[4:5], 0x70
	s_load_dwordx2 s[2:3], s[4:5], 0x30
	s_waitcnt lgkmcnt(0)
	s_bitcmp1_b32 s17, 0
	s_cselect_b64 s[0:1], -1, 0
	s_xor_b64 s[8:9], s[0:1], -1
	s_and_b64 vcc, exec, s[0:1]
	v_mov_b32_e32 v1, s2
	s_cbranch_vccnz .LBB52_2
; %bb.1:
	v_pk_mov_b32 v[2:3], s[2:3], s[2:3] op_sel:[0,1]
	flat_load_dword v1, v[2:3]
.LBB52_2:
	s_load_dwordx4 s[12:15], s[4:5], 0x50
	v_cndmask_b32_e64 v2, 0, 1, s[8:9]
	v_cmp_ne_u32_e64 s[0:1], 1, v2
	s_andn2_b64 vcc, exec, s[8:9]
	v_mov_b32_e32 v3, s3
	s_cbranch_vccz .LBB52_19
; %bb.3:
	s_and_b64 vcc, exec, s[0:1]
	s_waitcnt lgkmcnt(0)
	v_mov_b32_e32 v4, s14
	s_cbranch_vccz .LBB52_20
.LBB52_4:
	s_and_b64 vcc, exec, s[0:1]
	v_mov_b32_e32 v6, s15
	s_cbranch_vccnz .LBB52_6
.LBB52_5:
	v_pk_mov_b32 v[6:7], s[14:15], s[14:15] op_sel:[0,1]
	flat_load_dword v6, v[6:7] offset:4
.LBB52_6:
	s_waitcnt vmcnt(0)
	v_or_b32_e32 v2, v1, v3
	v_and_b32_e32 v2, 0x7fffffff, v2
	v_cmp_eq_u32_e32 vcc, 0, v2
	s_mov_b64 s[0:1], -1
	s_and_saveexec_b64 s[2:3], vcc
	s_cbranch_execz .LBB52_8
; %bb.7:
	s_waitcnt lgkmcnt(0)
	v_cmp_neq_f32_e32 vcc, 1.0, v4
	v_cmp_neq_f32_e64 s[0:1], 0, v6
	s_or_b64 s[0:1], vcc, s[0:1]
	s_orn2_b64 s[0:1], s[0:1], exec
.LBB52_8:
	s_or_b64 exec, exec, s[2:3]
	s_and_saveexec_b64 s[2:3], s[0:1]
	s_cbranch_execz .LBB52_41
; %bb.9:
	s_load_dwordx4 s[8:11], s[4:5], 0x20
	v_lshrrev_b32_e32 v2, 1, v0
	v_lshl_or_b32 v8, s6, 8, v2
	v_mov_b32_e32 v9, 0
	s_waitcnt lgkmcnt(0)
	v_cmp_gt_i64_e32 vcc, s[10:11], v[8:9]
	s_and_b64 exec, exec, vcc
	s_cbranch_execz .LBB52_41
; %bb.10:
	s_load_dwordx2 s[10:11], s[4:5], 0x10
	s_load_dwordx2 s[6:7], s[4:5], 0x68
	s_mov_b32 s0, 0
                                        ; implicit-def: $vgpr14_vgpr15
	s_waitcnt lgkmcnt(0)
	s_mov_b32 s1, s11
	s_cmp_lg_u64 s[0:1], 0
	s_cselect_b64 s[0:1], -1, 0
	s_and_saveexec_b64 s[2:3], s[0:1]
	s_xor_b64 s[14:15], exec, s[2:3]
	s_cbranch_execz .LBB52_12
; %bb.11:
	s_ashr_i32 s0, s11, 31
	s_add_u32 s2, s10, s0
	s_mov_b32 s1, s0
	s_addc_u32 s3, s11, s0
	s_xor_b64 s[18:19], s[2:3], s[0:1]
	v_cvt_f32_u32_e32 v5, s18
	v_cvt_f32_u32_e32 v7, s19
	s_sub_u32 s0, 0, s18
	s_subb_u32 s1, 0, s19
	v_madmk_f32 v5, v7, 0x4f800000, v5
	v_rcp_f32_e32 v5, v5
	v_mul_f32_e32 v5, 0x5f7ffffc, v5
	v_mul_f32_e32 v7, 0x2f800000, v5
	v_trunc_f32_e32 v7, v7
	v_madmk_f32 v5, v7, 0xcf800000, v5
	v_cvt_u32_f32_e32 v7, v7
	v_cvt_u32_f32_e32 v5, v5
	v_mul_lo_u32 v10, s0, v7
	v_mul_hi_u32 v12, s0, v5
	v_mul_lo_u32 v11, s1, v5
	v_add_u32_e32 v10, v12, v10
	v_mul_lo_u32 v13, s0, v5
	v_add_u32_e32 v10, v10, v11
	v_mul_lo_u32 v12, v5, v10
	v_mul_hi_u32 v14, v5, v13
	v_mul_hi_u32 v11, v5, v10
	v_add_co_u32_e32 v12, vcc, v14, v12
	v_addc_co_u32_e32 v11, vcc, 0, v11, vcc
	v_mul_hi_u32 v15, v7, v13
	v_mul_lo_u32 v13, v7, v13
	v_add_co_u32_e32 v12, vcc, v12, v13
	v_mul_hi_u32 v14, v7, v10
	v_addc_co_u32_e32 v11, vcc, v11, v15, vcc
	v_addc_co_u32_e32 v12, vcc, 0, v14, vcc
	v_mul_lo_u32 v10, v7, v10
	v_add_co_u32_e32 v10, vcc, v11, v10
	v_addc_co_u32_e32 v11, vcc, 0, v12, vcc
	v_add_co_u32_e32 v5, vcc, v5, v10
	v_addc_co_u32_e32 v7, vcc, v7, v11, vcc
	v_mul_lo_u32 v10, s0, v7
	v_mul_hi_u32 v11, s0, v5
	v_add_u32_e32 v10, v11, v10
	v_mul_lo_u32 v11, s1, v5
	v_add_u32_e32 v10, v10, v11
	v_mul_lo_u32 v12, s0, v5
	v_mul_hi_u32 v13, v7, v12
	v_mul_lo_u32 v14, v7, v12
	v_mul_lo_u32 v16, v5, v10
	v_mul_hi_u32 v12, v5, v12
	v_mul_hi_u32 v15, v5, v10
	v_add_co_u32_e32 v12, vcc, v12, v16
	v_addc_co_u32_e32 v15, vcc, 0, v15, vcc
	v_add_co_u32_e32 v12, vcc, v12, v14
	v_mul_hi_u32 v11, v7, v10
	v_addc_co_u32_e32 v12, vcc, v15, v13, vcc
	v_addc_co_u32_e32 v11, vcc, 0, v11, vcc
	v_mul_lo_u32 v10, v7, v10
	v_add_co_u32_e32 v10, vcc, v12, v10
	v_addc_co_u32_e32 v11, vcc, 0, v11, vcc
	v_add_co_u32_e32 v5, vcc, v5, v10
	v_addc_co_u32_e32 v7, vcc, v7, v11, vcc
	v_mad_u64_u32 v[10:11], s[0:1], v8, v7, 0
	v_mul_hi_u32 v12, v8, v5
	v_add_co_u32_e32 v14, vcc, v12, v10
	v_addc_co_u32_e32 v15, vcc, 0, v11, vcc
	v_mad_u64_u32 v[12:13], s[0:1], 0, v5, 0
	v_add_co_u32_e32 v5, vcc, v14, v12
	v_mad_u64_u32 v[10:11], s[0:1], 0, v7, 0
	v_addc_co_u32_e32 v5, vcc, v15, v13, vcc
	v_addc_co_u32_e32 v7, vcc, 0, v11, vcc
	v_add_co_u32_e32 v5, vcc, v5, v10
	v_addc_co_u32_e32 v7, vcc, 0, v7, vcc
	v_mul_lo_u32 v12, s19, v5
	v_mul_lo_u32 v7, s18, v7
	v_mad_u64_u32 v[10:11], s[0:1], s18, v5, 0
	v_add3_u32 v5, v11, v7, v12
	v_sub_u32_e32 v7, 0, v5
	v_mov_b32_e32 v11, s19
	v_sub_co_u32_e32 v10, vcc, v8, v10
	v_subb_co_u32_e64 v7, s[0:1], v7, v11, vcc
	v_subrev_co_u32_e64 v12, s[0:1], s18, v10
	v_subbrev_co_u32_e64 v13, s[2:3], 0, v7, s[0:1]
	v_cmp_le_u32_e64 s[2:3], s19, v13
	v_cndmask_b32_e64 v14, 0, -1, s[2:3]
	v_cmp_le_u32_e64 s[2:3], s18, v12
	v_subb_co_u32_e64 v7, s[0:1], v7, v11, s[0:1]
	v_cndmask_b32_e64 v15, 0, -1, s[2:3]
	v_cmp_eq_u32_e64 s[2:3], s19, v13
	v_subrev_co_u32_e64 v11, s[0:1], s18, v12
	v_cndmask_b32_e64 v14, v14, v15, s[2:3]
	v_subbrev_co_u32_e64 v7, s[0:1], 0, v7, s[0:1]
	v_subb_co_u32_e32 v5, vcc, 0, v5, vcc
	v_cmp_ne_u32_e64 s[0:1], 0, v14
	v_cmp_le_u32_e32 vcc, s19, v5
	v_cndmask_b32_e64 v7, v13, v7, s[0:1]
	v_cndmask_b32_e64 v13, 0, -1, vcc
	v_cmp_le_u32_e32 vcc, s18, v10
	v_cndmask_b32_e64 v14, 0, -1, vcc
	v_cmp_eq_u32_e32 vcc, s19, v5
	v_cndmask_b32_e32 v13, v13, v14, vcc
	v_cmp_ne_u32_e32 vcc, 0, v13
	v_cndmask_b32_e32 v5, v5, v7, vcc
	v_cndmask_b32_e64 v7, v12, v11, s[0:1]
	v_cndmask_b32_e32 v7, v10, v7, vcc
	v_subrev_co_u32_e32 v14, vcc, 0, v7
	v_subbrev_co_u32_e32 v15, vcc, 0, v5, vcc
.LBB52_12:
	s_andn2_saveexec_b64 s[0:1], s[14:15]
	s_cbranch_execz .LBB52_14
; %bb.13:
	v_cvt_f32_u32_e32 v5, s10
	s_sub_i32 s2, 0, s10
	v_mov_b32_e32 v15, 0
	v_rcp_iflag_f32_e32 v5, v5
	v_mul_f32_e32 v5, 0x4f7ffffe, v5
	v_cvt_u32_f32_e32 v5, v5
	v_mul_lo_u32 v7, s2, v5
	v_mul_hi_u32 v7, v5, v7
	v_add_u32_e32 v5, v5, v7
	v_mul_hi_u32 v5, v8, v5
	v_mul_lo_u32 v5, v5, s10
	v_sub_u32_e32 v5, v8, v5
	v_subrev_u32_e32 v7, s10, v5
	v_cmp_le_u32_e32 vcc, s10, v5
	v_cndmask_b32_e32 v5, v5, v7, vcc
	v_subrev_u32_e32 v7, s10, v5
	v_cmp_le_u32_e32 vcc, s10, v5
	v_cndmask_b32_e32 v14, v5, v7, vcc
.LBB52_14:
	s_or_b64 exec, exec, s[0:1]
	v_lshlrev_b64 v[8:9], 3, v[8:9]
	v_mov_b32_e32 v5, s7
	v_add_co_u32_e32 v10, vcc, s6, v8
	v_addc_co_u32_e32 v11, vcc, v5, v9, vcc
	global_load_dwordx2 v[10:11], v[10:11], off
	s_mov_b64 s[18:19], -1
	s_waitcnt vmcnt(0)
	v_subrev_co_u32_e32 v12, vcc, s16, v10
	v_subbrev_co_u32_e32 v13, vcc, 0, v11, vcc
	v_cmp_lt_i64_e32 vcc, -1, v[12:13]
	s_and_b64 exec, exec, vcc
	s_cbranch_execz .LBB52_41
; %bb.15:
	s_load_dwordx4 s[0:3], s[4:5], 0x0
	s_load_dwordx2 s[6:7], s[4:5], 0x40
	s_waitcnt lgkmcnt(0)
	s_cmp_eq_u32 s2, 1
	s_cselect_b64 s[10:11], -1, 0
	s_cmpk_eq_i32 s0, 0x6f
	s_cselect_b64 s[14:15], -1, 0
	s_cmpk_lg_i32 s0, 0x6f
	s_cselect_b64 s[16:17], -1, 0
	s_cmp_lg_u32 s2, 1
	s_cbranch_scc0 .LBB52_21
; %bb.16:
	s_andn2_b64 vcc, exec, s[14:15]
	v_pk_mov_b32 v[10:11], v[14:15], v[14:15] op_sel:[0,1]
	s_cbranch_vccnz .LBB52_18
; %bb.17:
	v_mul_lo_u32 v5, v15, s6
	v_mul_lo_u32 v7, v14, s7
	v_mad_u64_u32 v[10:11], s[18:19], v14, s6, 0
	v_add3_u32 v11, v11, v7, v5
.LBB52_18:
	s_cbranch_execz .LBB52_22
	s_branch .LBB52_25
.LBB52_19:
	v_pk_mov_b32 v[2:3], s[2:3], s[2:3] op_sel:[0,1]
	flat_load_dword v3, v[2:3] offset:4
	s_and_b64 vcc, exec, s[0:1]
	s_waitcnt lgkmcnt(0)
	v_mov_b32_e32 v4, s14
	s_cbranch_vccnz .LBB52_4
.LBB52_20:
	v_pk_mov_b32 v[4:5], s[14:15], s[14:15] op_sel:[0,1]
	flat_load_dword v4, v[4:5]
	s_and_b64 vcc, exec, s[0:1]
	v_mov_b32_e32 v6, s15
	s_cbranch_vccz .LBB52_5
	s_branch .LBB52_6
.LBB52_21:
                                        ; implicit-def: $vgpr10_vgpr11
	s_andn2_b64 vcc, exec, s[18:19]
	s_cbranch_vccnz .LBB52_25
.LBB52_22:
	s_andn2_b64 vcc, exec, s[16:17]
	s_cbranch_vccnz .LBB52_24
; %bb.23:
	v_mul_lo_u32 v5, v15, s6
	v_mul_lo_u32 v7, v14, s7
	v_mad_u64_u32 v[14:15], s[16:17], v14, s6, 0
	v_add3_u32 v15, v15, v7, v5
.LBB52_24:
	v_pk_mov_b32 v[10:11], v[14:15], v[14:15] op_sel:[0,1]
.LBB52_25:
	s_cmp_eq_u32 s3, 1
	s_cselect_b64 s[16:17], -1, 0
	s_cmpk_eq_i32 s1, 0x6f
	s_cselect_b64 s[18:19], -1, 0
	s_cmpk_lg_i32 s1, 0x6f
	s_cselect_b64 s[0:1], -1, 0
	s_cmp_lg_u32 s3, 1
	s_cbranch_scc0 .LBB52_29
; %bb.26:
	s_andn2_b64 vcc, exec, s[0:1]
	v_pk_mov_b32 v[16:17], v[12:13], v[12:13] op_sel:[0,1]
	s_cbranch_vccnz .LBB52_28
; %bb.27:
	v_mul_lo_u32 v5, v13, s12
	v_mul_lo_u32 v7, v12, s13
	v_mad_u64_u32 v[16:17], s[0:1], v12, s12, 0
	v_add3_u32 v17, v17, v7, v5
.LBB52_28:
	s_cbranch_execz .LBB52_30
	s_branch .LBB52_33
.LBB52_29:
                                        ; implicit-def: $vgpr16_vgpr17
.LBB52_30:
	s_andn2_b64 vcc, exec, s[18:19]
	s_cbranch_vccnz .LBB52_32
; %bb.31:
	v_mul_lo_u32 v5, v13, s12
	v_mul_lo_u32 v7, v12, s13
	v_mad_u64_u32 v[12:13], s[0:1], v12, s12, 0
	v_add3_u32 v13, v13, v7, v5
.LBB52_32:
	v_pk_mov_b32 v[16:17], v[12:13], v[12:13] op_sel:[0,1]
.LBB52_33:
	s_load_dwordx2 s[0:1], s[4:5], 0x60
	v_and_b32_e32 v12, 1, v0
	v_mov_b32_e32 v13, 0
	v_cmp_gt_i64_e32 vcc, s[8:9], v[12:13]
	v_mov_b32_e32 v15, v13
	v_mov_b32_e32 v14, v13
	s_and_saveexec_b64 s[2:3], vcc
	s_cbranch_execz .LBB52_37
; %bb.34:
	s_load_dwordx2 s[20:21], s[4:5], 0x38
	s_load_dwordx2 s[22:23], s[4:5], 0x48
	s_xor_b64 s[4:5], s[14:15], s[10:11]
	s_and_b64 s[4:5], s[4:5], exec
	s_cselect_b32 s7, 0, s7
	s_cselect_b32 s6, 1, s6
	s_xor_b64 s[4:5], s[18:19], s[16:17]
	s_and_b64 s[4:5], s[4:5], exec
	s_cselect_b32 s5, s13, 0
	s_cselect_b32 s4, s12, 1
	v_mul_lo_u32 v15, s5, v12
	v_mul_lo_u32 v14, s4, v12
	v_lshlrev_b64 v[14:15], 3, v[14:15]
	v_lshlrev_b64 v[16:17], 3, v[16:17]
	v_add_co_u32_e32 v0, vcc, v14, v16
	v_addc_co_u32_e32 v5, vcc, v15, v17, vcc
	s_waitcnt lgkmcnt(0)
	v_mov_b32_e32 v7, s23
	v_add_co_u32_e32 v0, vcc, s22, v0
	v_addc_co_u32_e32 v5, vcc, v5, v7, vcc
	v_add_co_u32_e32 v16, vcc, 4, v0
	v_mul_lo_u32 v15, s7, v12
	v_mul_lo_u32 v14, s6, v12
	v_addc_co_u32_e32 v17, vcc, 0, v5, vcc
	v_lshlrev_b64 v[14:15], 3, v[14:15]
	v_lshlrev_b64 v[10:11], 3, v[10:11]
	v_add_co_u32_e32 v0, vcc, v14, v10
	v_addc_co_u32_e32 v5, vcc, v15, v11, vcc
	s_lshl_b64 s[4:5], s[4:5], 4
	v_mov_b32_e32 v7, s21
	v_add_co_u32_e32 v10, vcc, s20, v0
	s_lshl_b64 s[10:11], s[6:7], 4
	v_mov_b32_e32 v14, 0
	v_addc_co_u32_e32 v11, vcc, v7, v5, vcc
	s_mov_b64 s[6:7], 0
	v_mov_b32_e32 v0, s5
	v_mov_b32_e32 v5, s11
	v_pk_mov_b32 v[18:19], v[12:13], v[12:13] op_sel:[0,1]
	v_mov_b32_e32 v15, v14
.LBB52_35:                              ; =>This Inner Loop Header: Depth=1
	global_load_dwordx2 v[20:21], v[10:11], off
	global_load_dwordx2 v[22:23], v[16:17], off offset:-4
	v_add_co_u32_e32 v18, vcc, 2, v18
	v_addc_co_u32_e32 v19, vcc, 0, v19, vcc
	v_add_co_u32_e32 v16, vcc, s4, v16
	v_addc_co_u32_e32 v17, vcc, v17, v0, vcc
	;; [unrolled: 2-line block ×3, first 2 shown]
	v_cmp_le_i64_e32 vcc, s[8:9], v[18:19]
	s_or_b64 s[6:7], vcc, s[6:7]
	s_waitcnt vmcnt(0)
	v_pk_mul_f32 v[24:25], v[22:23], v[20:21] op_sel:[1,1] op_sel_hi:[1,0] neg_lo:[0,1]
	v_pk_fma_f32 v[20:21], v[20:21], v[22:23], v[24:25] op_sel_hi:[1,0,1]
	v_pk_add_f32 v[14:15], v[14:15], v[20:21]
	s_andn2_b64 exec, exec, s[6:7]
	s_cbranch_execnz .LBB52_35
; %bb.36:
	s_or_b64 exec, exec, s[6:7]
.LBB52_37:
	s_or_b64 exec, exec, s[2:3]
	v_lshlrev_b32_e32 v0, 4, v2
	v_lshl_or_b32 v2, v12, 3, v0
	v_cmp_eq_u32_e32 vcc, 0, v12
	ds_write_b64 v2, v[14:15]
	s_waitcnt lgkmcnt(0)
	s_barrier
	s_and_saveexec_b64 s[2:3], vcc
	s_cbranch_execz .LBB52_39
; %bb.38:
	ds_read_b64 v[10:11], v0 offset:8
	ds_read_b64 v[12:13], v2
	s_waitcnt lgkmcnt(0)
	v_pk_add_f32 v[10:11], v[10:11], v[12:13]
	ds_write_b64 v2, v[10:11]
.LBB52_39:
	s_or_b64 exec, exec, s[2:3]
	s_waitcnt lgkmcnt(0)
	s_barrier
	s_and_b64 exec, exec, vcc
	s_cbranch_execz .LBB52_41
; %bb.40:
	v_mov_b32_e32 v2, s1
	v_add_co_u32_e32 v8, vcc, s0, v8
	v_addc_co_u32_e32 v9, vcc, v2, v9, vcc
	global_load_dwordx2 v[10:11], v[8:9], off
	ds_read_b64 v[12:13], v0
	v_xor_b32_e32 v15, 0x80000000, v3
	s_waitcnt lgkmcnt(0)
	v_mov_b32_e32 v7, v13
	v_mov_b32_e32 v5, v12
	s_waitcnt vmcnt(0)
	v_mov_b32_e32 v14, v10
	v_mov_b32_e32 v0, v11
	v_pk_mul_f32 v[12:13], v[6:7], v[14:15]
	v_pk_fma_f32 v[12:13], v[0:1], v[4:5], v[12:13]
	v_xor_b32_e32 v0, 0x80000000, v11
	v_mov_b32_e32 v2, v10
	v_pk_mul_f32 v[0:1], v[6:7], v[0:1]
	v_pk_fma_f32 v[0:1], v[2:3], v[4:5], v[0:1]
	v_pk_add_f32 v[0:1], v[12:13], v[0:1] op_sel:[0,1] op_sel_hi:[1,0]
	v_mov_b32_e32 v2, v1
	v_mov_b32_e32 v3, v0
	global_store_dwordx2 v[8:9], v[2:3], off
.LBB52_41:
	s_endpgm
	.section	.rodata,"a",@progbits
	.p2align	6, 0x0
	.amdhsa_kernel _ZN9rocsparseL16sddmm_ell_kernelILi512ELi2E21rocsparse_complex_numIfEllS2_S2_S2_EEv20rocsparse_operation_S3_16rocsparse_order_S4_T3_S5_S5_T2_NS_24const_host_device_scalarIT1_EEPKT4_lPKT5_lS9_PT6_PKS5_21rocsparse_index_base_b
		.amdhsa_group_segment_fixed_size 4096
		.amdhsa_private_segment_fixed_size 0
		.amdhsa_kernarg_size 120
		.amdhsa_user_sgpr_count 6
		.amdhsa_user_sgpr_private_segment_buffer 1
		.amdhsa_user_sgpr_dispatch_ptr 0
		.amdhsa_user_sgpr_queue_ptr 0
		.amdhsa_user_sgpr_kernarg_segment_ptr 1
		.amdhsa_user_sgpr_dispatch_id 0
		.amdhsa_user_sgpr_flat_scratch_init 0
		.amdhsa_user_sgpr_kernarg_preload_length 0
		.amdhsa_user_sgpr_kernarg_preload_offset 0
		.amdhsa_user_sgpr_private_segment_size 0
		.amdhsa_uses_dynamic_stack 0
		.amdhsa_system_sgpr_private_segment_wavefront_offset 0
		.amdhsa_system_sgpr_workgroup_id_x 1
		.amdhsa_system_sgpr_workgroup_id_y 0
		.amdhsa_system_sgpr_workgroup_id_z 0
		.amdhsa_system_sgpr_workgroup_info 0
		.amdhsa_system_vgpr_workitem_id 0
		.amdhsa_next_free_vgpr 26
		.amdhsa_next_free_sgpr 24
		.amdhsa_accum_offset 28
		.amdhsa_reserve_vcc 1
		.amdhsa_reserve_flat_scratch 0
		.amdhsa_float_round_mode_32 0
		.amdhsa_float_round_mode_16_64 0
		.amdhsa_float_denorm_mode_32 3
		.amdhsa_float_denorm_mode_16_64 3
		.amdhsa_dx10_clamp 1
		.amdhsa_ieee_mode 1
		.amdhsa_fp16_overflow 0
		.amdhsa_tg_split 0
		.amdhsa_exception_fp_ieee_invalid_op 0
		.amdhsa_exception_fp_denorm_src 0
		.amdhsa_exception_fp_ieee_div_zero 0
		.amdhsa_exception_fp_ieee_overflow 0
		.amdhsa_exception_fp_ieee_underflow 0
		.amdhsa_exception_fp_ieee_inexact 0
		.amdhsa_exception_int_div_zero 0
	.end_amdhsa_kernel
	.section	.text._ZN9rocsparseL16sddmm_ell_kernelILi512ELi2E21rocsparse_complex_numIfEllS2_S2_S2_EEv20rocsparse_operation_S3_16rocsparse_order_S4_T3_S5_S5_T2_NS_24const_host_device_scalarIT1_EEPKT4_lPKT5_lS9_PT6_PKS5_21rocsparse_index_base_b,"axG",@progbits,_ZN9rocsparseL16sddmm_ell_kernelILi512ELi2E21rocsparse_complex_numIfEllS2_S2_S2_EEv20rocsparse_operation_S3_16rocsparse_order_S4_T3_S5_S5_T2_NS_24const_host_device_scalarIT1_EEPKT4_lPKT5_lS9_PT6_PKS5_21rocsparse_index_base_b,comdat
.Lfunc_end52:
	.size	_ZN9rocsparseL16sddmm_ell_kernelILi512ELi2E21rocsparse_complex_numIfEllS2_S2_S2_EEv20rocsparse_operation_S3_16rocsparse_order_S4_T3_S5_S5_T2_NS_24const_host_device_scalarIT1_EEPKT4_lPKT5_lS9_PT6_PKS5_21rocsparse_index_base_b, .Lfunc_end52-_ZN9rocsparseL16sddmm_ell_kernelILi512ELi2E21rocsparse_complex_numIfEllS2_S2_S2_EEv20rocsparse_operation_S3_16rocsparse_order_S4_T3_S5_S5_T2_NS_24const_host_device_scalarIT1_EEPKT4_lPKT5_lS9_PT6_PKS5_21rocsparse_index_base_b
                                        ; -- End function
	.section	.AMDGPU.csdata,"",@progbits
; Kernel info:
; codeLenInByte = 2012
; NumSgprs: 28
; NumVgprs: 26
; NumAgprs: 0
; TotalNumVgprs: 26
; ScratchSize: 0
; MemoryBound: 0
; FloatMode: 240
; IeeeMode: 1
; LDSByteSize: 4096 bytes/workgroup (compile time only)
; SGPRBlocks: 3
; VGPRBlocks: 3
; NumSGPRsForWavesPerEU: 28
; NumVGPRsForWavesPerEU: 26
; AccumOffset: 28
; Occupancy: 8
; WaveLimiterHint : 0
; COMPUTE_PGM_RSRC2:SCRATCH_EN: 0
; COMPUTE_PGM_RSRC2:USER_SGPR: 6
; COMPUTE_PGM_RSRC2:TRAP_HANDLER: 0
; COMPUTE_PGM_RSRC2:TGID_X_EN: 1
; COMPUTE_PGM_RSRC2:TGID_Y_EN: 0
; COMPUTE_PGM_RSRC2:TGID_Z_EN: 0
; COMPUTE_PGM_RSRC2:TIDIG_COMP_CNT: 0
; COMPUTE_PGM_RSRC3_GFX90A:ACCUM_OFFSET: 6
; COMPUTE_PGM_RSRC3_GFX90A:TG_SPLIT: 0
	.section	.text._ZN9rocsparseL16sddmm_ell_kernelILi512ELi1E21rocsparse_complex_numIfEllS2_S2_S2_EEv20rocsparse_operation_S3_16rocsparse_order_S4_T3_S5_S5_T2_NS_24const_host_device_scalarIT1_EEPKT4_lPKT5_lS9_PT6_PKS5_21rocsparse_index_base_b,"axG",@progbits,_ZN9rocsparseL16sddmm_ell_kernelILi512ELi1E21rocsparse_complex_numIfEllS2_S2_S2_EEv20rocsparse_operation_S3_16rocsparse_order_S4_T3_S5_S5_T2_NS_24const_host_device_scalarIT1_EEPKT4_lPKT5_lS9_PT6_PKS5_21rocsparse_index_base_b,comdat
	.globl	_ZN9rocsparseL16sddmm_ell_kernelILi512ELi1E21rocsparse_complex_numIfEllS2_S2_S2_EEv20rocsparse_operation_S3_16rocsparse_order_S4_T3_S5_S5_T2_NS_24const_host_device_scalarIT1_EEPKT4_lPKT5_lS9_PT6_PKS5_21rocsparse_index_base_b ; -- Begin function _ZN9rocsparseL16sddmm_ell_kernelILi512ELi1E21rocsparse_complex_numIfEllS2_S2_S2_EEv20rocsparse_operation_S3_16rocsparse_order_S4_T3_S5_S5_T2_NS_24const_host_device_scalarIT1_EEPKT4_lPKT5_lS9_PT6_PKS5_21rocsparse_index_base_b
	.p2align	8
	.type	_ZN9rocsparseL16sddmm_ell_kernelILi512ELi1E21rocsparse_complex_numIfEllS2_S2_S2_EEv20rocsparse_operation_S3_16rocsparse_order_S4_T3_S5_S5_T2_NS_24const_host_device_scalarIT1_EEPKT4_lPKT5_lS9_PT6_PKS5_21rocsparse_index_base_b,@function
_ZN9rocsparseL16sddmm_ell_kernelILi512ELi1E21rocsparse_complex_numIfEllS2_S2_S2_EEv20rocsparse_operation_S3_16rocsparse_order_S4_T3_S5_S5_T2_NS_24const_host_device_scalarIT1_EEPKT4_lPKT5_lS9_PT6_PKS5_21rocsparse_index_base_b: ; @_ZN9rocsparseL16sddmm_ell_kernelILi512ELi1E21rocsparse_complex_numIfEllS2_S2_S2_EEv20rocsparse_operation_S3_16rocsparse_order_S4_T3_S5_S5_T2_NS_24const_host_device_scalarIT1_EEPKT4_lPKT5_lS9_PT6_PKS5_21rocsparse_index_base_b
; %bb.0:
	s_load_dwordx2 s[16:17], s[4:5], 0x70
	s_load_dwordx2 s[2:3], s[4:5], 0x30
	s_waitcnt lgkmcnt(0)
	s_bitcmp1_b32 s17, 0
	s_cselect_b64 s[0:1], -1, 0
	s_xor_b64 s[12:13], s[0:1], -1
	s_and_b64 vcc, exec, s[0:1]
	v_mov_b32_e32 v1, s2
	s_cbranch_vccnz .LBB53_2
; %bb.1:
	v_pk_mov_b32 v[2:3], s[2:3], s[2:3] op_sel:[0,1]
	flat_load_dword v1, v[2:3]
.LBB53_2:
	s_load_dwordx4 s[8:11], s[4:5], 0x50
	v_cndmask_b32_e64 v2, 0, 1, s[12:13]
	v_cmp_ne_u32_e64 s[0:1], 1, v2
	s_andn2_b64 vcc, exec, s[12:13]
	v_mov_b32_e32 v3, s3
	s_cbranch_vccz .LBB53_19
; %bb.3:
	s_and_b64 vcc, exec, s[0:1]
	s_waitcnt lgkmcnt(0)
	v_mov_b32_e32 v4, s10
	s_cbranch_vccz .LBB53_20
.LBB53_4:
	s_and_b64 vcc, exec, s[0:1]
	v_mov_b32_e32 v6, s11
	s_cbranch_vccnz .LBB53_6
.LBB53_5:
	v_pk_mov_b32 v[6:7], s[10:11], s[10:11] op_sel:[0,1]
	flat_load_dword v6, v[6:7] offset:4
.LBB53_6:
	s_waitcnt vmcnt(0)
	v_or_b32_e32 v2, v1, v3
	v_and_b32_e32 v2, 0x7fffffff, v2
	v_cmp_eq_u32_e32 vcc, 0, v2
	s_mov_b64 s[0:1], -1
	s_and_saveexec_b64 s[2:3], vcc
	s_cbranch_execz .LBB53_8
; %bb.7:
	s_waitcnt lgkmcnt(0)
	v_cmp_neq_f32_e32 vcc, 1.0, v4
	v_cmp_neq_f32_e64 s[0:1], 0, v6
	s_or_b64 s[0:1], vcc, s[0:1]
	s_orn2_b64 s[0:1], s[0:1], exec
.LBB53_8:
	s_or_b64 exec, exec, s[2:3]
	s_and_saveexec_b64 s[2:3], s[0:1]
	s_cbranch_execz .LBB53_37
; %bb.9:
	s_load_dwordx4 s[12:15], s[4:5], 0x20
	v_lshl_or_b32 v8, s6, 9, v0
	v_mov_b32_e32 v9, 0
	s_waitcnt lgkmcnt(0)
	v_cmp_gt_i64_e32 vcc, s[14:15], v[8:9]
	s_and_b64 exec, exec, vcc
	s_cbranch_execz .LBB53_37
; %bb.10:
	s_load_dwordx2 s[10:11], s[4:5], 0x10
	s_load_dwordx2 s[6:7], s[4:5], 0x68
	s_mov_b32 s0, 0
                                        ; implicit-def: $vgpr12_vgpr13
	s_waitcnt lgkmcnt(0)
	s_mov_b32 s1, s11
	s_cmp_lg_u64 s[0:1], 0
	s_cselect_b64 s[0:1], -1, 0
	s_and_saveexec_b64 s[2:3], s[0:1]
	s_xor_b64 s[14:15], exec, s[2:3]
	s_cbranch_execz .LBB53_12
; %bb.11:
	s_ashr_i32 s0, s11, 31
	s_add_u32 s2, s10, s0
	s_mov_b32 s1, s0
	s_addc_u32 s3, s11, s0
	s_xor_b64 s[18:19], s[2:3], s[0:1]
	v_cvt_f32_u32_e32 v2, s18
	v_cvt_f32_u32_e32 v5, s19
	s_sub_u32 s0, 0, s18
	s_subb_u32 s1, 0, s19
	v_madmk_f32 v2, v5, 0x4f800000, v2
	v_rcp_f32_e32 v2, v2
	v_mul_f32_e32 v2, 0x5f7ffffc, v2
	v_mul_f32_e32 v5, 0x2f800000, v2
	v_trunc_f32_e32 v5, v5
	v_madmk_f32 v2, v5, 0xcf800000, v2
	v_cvt_u32_f32_e32 v5, v5
	v_cvt_u32_f32_e32 v2, v2
	v_mul_lo_u32 v7, s0, v5
	v_mul_hi_u32 v11, s0, v2
	v_mul_lo_u32 v10, s1, v2
	v_add_u32_e32 v7, v11, v7
	v_mul_lo_u32 v12, s0, v2
	v_add_u32_e32 v7, v7, v10
	v_mul_lo_u32 v11, v2, v7
	v_mul_hi_u32 v13, v2, v12
	v_mul_hi_u32 v10, v2, v7
	v_add_co_u32_e32 v11, vcc, v13, v11
	v_addc_co_u32_e32 v10, vcc, 0, v10, vcc
	v_mul_hi_u32 v14, v5, v12
	v_mul_lo_u32 v12, v5, v12
	v_add_co_u32_e32 v11, vcc, v11, v12
	v_mul_hi_u32 v13, v5, v7
	v_addc_co_u32_e32 v10, vcc, v10, v14, vcc
	v_addc_co_u32_e32 v11, vcc, 0, v13, vcc
	v_mul_lo_u32 v7, v5, v7
	v_add_co_u32_e32 v7, vcc, v10, v7
	v_addc_co_u32_e32 v10, vcc, 0, v11, vcc
	v_add_co_u32_e32 v2, vcc, v2, v7
	v_addc_co_u32_e32 v5, vcc, v5, v10, vcc
	v_mul_lo_u32 v7, s0, v5
	v_mul_hi_u32 v10, s0, v2
	v_add_u32_e32 v7, v10, v7
	v_mul_lo_u32 v10, s1, v2
	v_add_u32_e32 v7, v7, v10
	v_mul_lo_u32 v11, s0, v2
	v_mul_hi_u32 v12, v5, v11
	v_mul_lo_u32 v13, v5, v11
	v_mul_lo_u32 v15, v2, v7
	v_mul_hi_u32 v11, v2, v11
	v_mul_hi_u32 v14, v2, v7
	v_add_co_u32_e32 v11, vcc, v11, v15
	v_addc_co_u32_e32 v14, vcc, 0, v14, vcc
	v_add_co_u32_e32 v11, vcc, v11, v13
	v_mul_hi_u32 v10, v5, v7
	v_addc_co_u32_e32 v11, vcc, v14, v12, vcc
	v_addc_co_u32_e32 v10, vcc, 0, v10, vcc
	v_mul_lo_u32 v7, v5, v7
	v_add_co_u32_e32 v7, vcc, v11, v7
	v_addc_co_u32_e32 v10, vcc, 0, v10, vcc
	v_add_co_u32_e32 v2, vcc, v2, v7
	v_addc_co_u32_e32 v5, vcc, v5, v10, vcc
	v_mad_u64_u32 v[10:11], s[0:1], v8, v5, 0
	v_mul_hi_u32 v7, v8, v2
	v_add_co_u32_e32 v7, vcc, v7, v10
	v_addc_co_u32_e32 v14, vcc, 0, v11, vcc
	v_mad_u64_u32 v[12:13], s[0:1], 0, v2, 0
	v_add_co_u32_e32 v2, vcc, v7, v12
	v_mad_u64_u32 v[10:11], s[0:1], 0, v5, 0
	v_addc_co_u32_e32 v2, vcc, v14, v13, vcc
	v_addc_co_u32_e32 v5, vcc, 0, v11, vcc
	v_add_co_u32_e32 v2, vcc, v2, v10
	v_addc_co_u32_e32 v5, vcc, 0, v5, vcc
	v_mul_lo_u32 v7, s19, v2
	v_mul_lo_u32 v5, s18, v5
	v_mad_u64_u32 v[10:11], s[0:1], s18, v2, 0
	v_add3_u32 v2, v11, v5, v7
	v_sub_u32_e32 v5, 0, v2
	v_mov_b32_e32 v7, s19
	v_sub_co_u32_e32 v10, vcc, v8, v10
	v_subb_co_u32_e64 v5, s[0:1], v5, v7, vcc
	v_subrev_co_u32_e64 v11, s[0:1], s18, v10
	v_subbrev_co_u32_e64 v12, s[2:3], 0, v5, s[0:1]
	v_cmp_le_u32_e64 s[2:3], s19, v12
	v_cndmask_b32_e64 v13, 0, -1, s[2:3]
	v_cmp_le_u32_e64 s[2:3], s18, v11
	v_subb_co_u32_e64 v5, s[0:1], v5, v7, s[0:1]
	v_cndmask_b32_e64 v14, 0, -1, s[2:3]
	v_cmp_eq_u32_e64 s[2:3], s19, v12
	v_subrev_co_u32_e64 v7, s[0:1], s18, v11
	v_cndmask_b32_e64 v13, v13, v14, s[2:3]
	v_subbrev_co_u32_e64 v5, s[0:1], 0, v5, s[0:1]
	v_subb_co_u32_e32 v2, vcc, 0, v2, vcc
	v_cmp_ne_u32_e64 s[0:1], 0, v13
	v_cmp_le_u32_e32 vcc, s19, v2
	v_cndmask_b32_e64 v5, v12, v5, s[0:1]
	v_cndmask_b32_e64 v12, 0, -1, vcc
	v_cmp_le_u32_e32 vcc, s18, v10
	v_cndmask_b32_e64 v13, 0, -1, vcc
	v_cmp_eq_u32_e32 vcc, s19, v2
	v_cndmask_b32_e32 v12, v12, v13, vcc
	v_cmp_ne_u32_e32 vcc, 0, v12
	v_cndmask_b32_e32 v2, v2, v5, vcc
	v_cndmask_b32_e64 v5, v11, v7, s[0:1]
	v_cndmask_b32_e32 v5, v10, v5, vcc
	v_subrev_co_u32_e32 v12, vcc, 0, v5
	v_subbrev_co_u32_e32 v13, vcc, 0, v2, vcc
.LBB53_12:
	s_andn2_saveexec_b64 s[0:1], s[14:15]
	s_cbranch_execz .LBB53_14
; %bb.13:
	v_cvt_f32_u32_e32 v2, s10
	s_sub_i32 s2, 0, s10
	v_mov_b32_e32 v13, 0
	v_rcp_iflag_f32_e32 v2, v2
	v_mul_f32_e32 v2, 0x4f7ffffe, v2
	v_cvt_u32_f32_e32 v2, v2
	v_mul_lo_u32 v5, s2, v2
	v_mul_hi_u32 v5, v2, v5
	v_add_u32_e32 v2, v2, v5
	v_mul_hi_u32 v2, v8, v2
	v_mul_lo_u32 v2, v2, s10
	v_sub_u32_e32 v2, v8, v2
	v_subrev_u32_e32 v5, s10, v2
	v_cmp_le_u32_e32 vcc, s10, v2
	v_cndmask_b32_e32 v2, v2, v5, vcc
	v_subrev_u32_e32 v5, s10, v2
	v_cmp_le_u32_e32 vcc, s10, v2
	v_cndmask_b32_e32 v12, v2, v5, vcc
.LBB53_14:
	s_or_b64 exec, exec, s[0:1]
	v_lshlrev_b64 v[8:9], 3, v[8:9]
	v_mov_b32_e32 v2, s7
	v_add_co_u32_e32 v10, vcc, s6, v8
	v_addc_co_u32_e32 v11, vcc, v2, v9, vcc
	global_load_dwordx2 v[10:11], v[10:11], off
	s_mov_b64 s[18:19], -1
	s_waitcnt vmcnt(0)
	v_subrev_co_u32_e32 v10, vcc, s16, v10
	v_subbrev_co_u32_e32 v11, vcc, 0, v11, vcc
	v_cmp_lt_i64_e32 vcc, -1, v[10:11]
	s_and_b64 exec, exec, vcc
	s_cbranch_execz .LBB53_37
; %bb.15:
	s_load_dwordx4 s[0:3], s[4:5], 0x0
	s_load_dwordx2 s[6:7], s[4:5], 0x40
	s_waitcnt lgkmcnt(0)
	s_cmp_eq_u32 s2, 1
	s_cselect_b64 s[10:11], -1, 0
	s_cmpk_eq_i32 s0, 0x6f
	s_cselect_b64 s[14:15], -1, 0
	s_cmpk_lg_i32 s0, 0x6f
	s_cselect_b64 s[16:17], -1, 0
	s_cmp_lg_u32 s2, 1
	s_cbranch_scc0 .LBB53_21
; %bb.16:
	s_andn2_b64 vcc, exec, s[14:15]
	v_pk_mov_b32 v[14:15], v[12:13], v[12:13] op_sel:[0,1]
	s_cbranch_vccnz .LBB53_18
; %bb.17:
	v_mul_lo_u32 v2, v13, s6
	v_mul_lo_u32 v5, v12, s7
	v_mad_u64_u32 v[14:15], s[18:19], v12, s6, 0
	v_add3_u32 v15, v15, v5, v2
.LBB53_18:
	s_cbranch_execz .LBB53_22
	s_branch .LBB53_25
.LBB53_19:
	v_pk_mov_b32 v[2:3], s[2:3], s[2:3] op_sel:[0,1]
	flat_load_dword v3, v[2:3] offset:4
	s_and_b64 vcc, exec, s[0:1]
	s_waitcnt lgkmcnt(0)
	v_mov_b32_e32 v4, s10
	s_cbranch_vccnz .LBB53_4
.LBB53_20:
	v_pk_mov_b32 v[4:5], s[10:11], s[10:11] op_sel:[0,1]
	flat_load_dword v4, v[4:5]
	s_and_b64 vcc, exec, s[0:1]
	v_mov_b32_e32 v6, s11
	s_cbranch_vccz .LBB53_5
	s_branch .LBB53_6
.LBB53_21:
                                        ; implicit-def: $vgpr14_vgpr15
	s_andn2_b64 vcc, exec, s[18:19]
	s_cbranch_vccnz .LBB53_25
.LBB53_22:
	s_andn2_b64 vcc, exec, s[16:17]
	s_cbranch_vccnz .LBB53_24
; %bb.23:
	v_mul_lo_u32 v2, v13, s6
	v_mul_lo_u32 v5, v12, s7
	v_mad_u64_u32 v[12:13], s[16:17], v12, s6, 0
	v_add3_u32 v13, v13, v5, v2
.LBB53_24:
	v_pk_mov_b32 v[14:15], v[12:13], v[12:13] op_sel:[0,1]
.LBB53_25:
	s_cmp_eq_u32 s3, 1
	s_cselect_b64 s[16:17], -1, 0
	s_cmpk_eq_i32 s1, 0x6f
	s_cselect_b64 s[18:19], -1, 0
	s_cmpk_lg_i32 s1, 0x6f
	s_cselect_b64 s[0:1], -1, 0
	s_cmp_lg_u32 s3, 1
	s_cbranch_scc0 .LBB53_29
; %bb.26:
	s_andn2_b64 vcc, exec, s[0:1]
	v_pk_mov_b32 v[12:13], v[10:11], v[10:11] op_sel:[0,1]
	s_cbranch_vccnz .LBB53_28
; %bb.27:
	v_mul_lo_u32 v2, v11, s8
	v_mul_lo_u32 v5, v10, s9
	v_mad_u64_u32 v[12:13], s[0:1], v10, s8, 0
	v_add3_u32 v13, v13, v5, v2
.LBB53_28:
	s_cbranch_execz .LBB53_30
	s_branch .LBB53_33
.LBB53_29:
                                        ; implicit-def: $vgpr12_vgpr13
.LBB53_30:
	s_andn2_b64 vcc, exec, s[18:19]
	s_cbranch_vccnz .LBB53_32
; %bb.31:
	v_mul_lo_u32 v2, v11, s8
	v_mul_lo_u32 v5, v10, s9
	v_mad_u64_u32 v[10:11], s[0:1], v10, s8, 0
	v_add3_u32 v11, v11, v5, v2
.LBB53_32:
	v_pk_mov_b32 v[12:13], v[10:11], v[10:11] op_sel:[0,1]
.LBB53_33:
	s_load_dwordx2 s[0:1], s[4:5], 0x60
	v_cmp_lt_i64_e64 s[2:3], s[12:13], 1
	v_mov_b32_e32 v17, 0
	s_and_b64 vcc, exec, s[2:3]
	v_mov_b32_e32 v16, v17
	s_cbranch_vccnz .LBB53_36
; %bb.34:
	s_load_dwordx2 s[2:3], s[4:5], 0x38
	s_load_dwordx2 s[20:21], s[4:5], 0x48
	v_lshlrev_b64 v[10:11], 3, v[14:15]
	v_lshlrev_b64 v[12:13], 3, v[12:13]
	v_mov_b32_e32 v16, 0
	s_waitcnt lgkmcnt(0)
	v_mov_b32_e32 v2, s3
	v_add_co_u32_e32 v10, vcc, s2, v10
	s_xor_b64 s[2:3], s[14:15], s[10:11]
	s_and_b64 s[2:3], s[2:3], exec
	v_addc_co_u32_e32 v11, vcc, v2, v11, vcc
	s_cselect_b32 s5, 0, s7
	s_cselect_b32 s4, 1, s6
	s_xor_b64 s[2:3], s[18:19], s[16:17]
	s_and_b64 s[2:3], s[2:3], exec
	v_mov_b32_e32 v2, s21
	v_add_co_u32_e32 v5, vcc, s20, v12
	s_cselect_b32 s3, s9, 0
	s_cselect_b32 s2, s8, 1
	v_addc_co_u32_e32 v2, vcc, v13, v2, vcc
	v_add_co_u32_e32 v12, vcc, 4, v5
	s_lshl_b64 s[2:3], s[2:3], 3
	s_lshl_b64 s[4:5], s[4:5], 3
	v_addc_co_u32_e32 v13, vcc, 0, v2, vcc
	v_mov_b32_e32 v2, s3
	v_mov_b32_e32 v5, s5
	;; [unrolled: 1-line block ×3, first 2 shown]
.LBB53_35:                              ; =>This Inner Loop Header: Depth=1
	global_load_dwordx2 v[14:15], v[10:11], off
	global_load_dwordx2 v[18:19], v[12:13], off offset:-4
	v_add_co_u32_e32 v12, vcc, s2, v12
	s_add_u32 s12, s12, -1
	v_addc_co_u32_e32 v13, vcc, v13, v2, vcc
	v_add_co_u32_e32 v10, vcc, s4, v10
	s_addc_u32 s13, s13, -1
	v_addc_co_u32_e32 v11, vcc, v11, v5, vcc
	s_cmp_eq_u64 s[12:13], 0
	s_waitcnt vmcnt(0)
	v_pk_mul_f32 v[20:21], v[18:19], v[14:15] op_sel:[1,1] op_sel_hi:[1,0] neg_lo:[0,1]
	v_pk_fma_f32 v[14:15], v[14:15], v[18:19], v[20:21] op_sel_hi:[1,0,1]
	v_pk_add_f32 v[16:17], v[16:17], v[14:15]
	s_cbranch_scc0 .LBB53_35
.LBB53_36:
	s_waitcnt lgkmcnt(0)
	v_mov_b32_e32 v2, s1
	v_add_co_u32_e32 v8, vcc, s0, v8
	v_lshlrev_b32_e32 v0, 3, v0
	v_addc_co_u32_e32 v9, vcc, v2, v9, vcc
	ds_write_b64 v0, v[16:17]
	s_waitcnt lgkmcnt(0)
	s_barrier
	global_load_dwordx2 v[10:11], v[8:9], off
	ds_read_b64 v[12:13], v0
	v_xor_b32_e32 v15, 0x80000000, v3
	s_waitcnt lgkmcnt(0)
	v_mov_b32_e32 v7, v13
	v_mov_b32_e32 v5, v12
	s_waitcnt vmcnt(0)
	v_mov_b32_e32 v14, v10
	v_mov_b32_e32 v0, v11
	v_pk_mul_f32 v[12:13], v[6:7], v[14:15]
	v_pk_fma_f32 v[12:13], v[0:1], v[4:5], v[12:13]
	v_xor_b32_e32 v0, 0x80000000, v11
	v_mov_b32_e32 v2, v10
	v_pk_mul_f32 v[0:1], v[6:7], v[0:1]
	v_pk_fma_f32 v[0:1], v[2:3], v[4:5], v[0:1]
	v_pk_add_f32 v[0:1], v[12:13], v[0:1] op_sel:[0,1] op_sel_hi:[1,0]
	v_mov_b32_e32 v2, v1
	v_mov_b32_e32 v3, v0
	global_store_dwordx2 v[8:9], v[2:3], off
.LBB53_37:
	s_endpgm
	.section	.rodata,"a",@progbits
	.p2align	6, 0x0
	.amdhsa_kernel _ZN9rocsparseL16sddmm_ell_kernelILi512ELi1E21rocsparse_complex_numIfEllS2_S2_S2_EEv20rocsparse_operation_S3_16rocsparse_order_S4_T3_S5_S5_T2_NS_24const_host_device_scalarIT1_EEPKT4_lPKT5_lS9_PT6_PKS5_21rocsparse_index_base_b
		.amdhsa_group_segment_fixed_size 4096
		.amdhsa_private_segment_fixed_size 0
		.amdhsa_kernarg_size 120
		.amdhsa_user_sgpr_count 6
		.amdhsa_user_sgpr_private_segment_buffer 1
		.amdhsa_user_sgpr_dispatch_ptr 0
		.amdhsa_user_sgpr_queue_ptr 0
		.amdhsa_user_sgpr_kernarg_segment_ptr 1
		.amdhsa_user_sgpr_dispatch_id 0
		.amdhsa_user_sgpr_flat_scratch_init 0
		.amdhsa_user_sgpr_kernarg_preload_length 0
		.amdhsa_user_sgpr_kernarg_preload_offset 0
		.amdhsa_user_sgpr_private_segment_size 0
		.amdhsa_uses_dynamic_stack 0
		.amdhsa_system_sgpr_private_segment_wavefront_offset 0
		.amdhsa_system_sgpr_workgroup_id_x 1
		.amdhsa_system_sgpr_workgroup_id_y 0
		.amdhsa_system_sgpr_workgroup_id_z 0
		.amdhsa_system_sgpr_workgroup_info 0
		.amdhsa_system_vgpr_workitem_id 0
		.amdhsa_next_free_vgpr 22
		.amdhsa_next_free_sgpr 22
		.amdhsa_accum_offset 24
		.amdhsa_reserve_vcc 1
		.amdhsa_reserve_flat_scratch 0
		.amdhsa_float_round_mode_32 0
		.amdhsa_float_round_mode_16_64 0
		.amdhsa_float_denorm_mode_32 3
		.amdhsa_float_denorm_mode_16_64 3
		.amdhsa_dx10_clamp 1
		.amdhsa_ieee_mode 1
		.amdhsa_fp16_overflow 0
		.amdhsa_tg_split 0
		.amdhsa_exception_fp_ieee_invalid_op 0
		.amdhsa_exception_fp_denorm_src 0
		.amdhsa_exception_fp_ieee_div_zero 0
		.amdhsa_exception_fp_ieee_overflow 0
		.amdhsa_exception_fp_ieee_underflow 0
		.amdhsa_exception_fp_ieee_inexact 0
		.amdhsa_exception_int_div_zero 0
	.end_amdhsa_kernel
	.section	.text._ZN9rocsparseL16sddmm_ell_kernelILi512ELi1E21rocsparse_complex_numIfEllS2_S2_S2_EEv20rocsparse_operation_S3_16rocsparse_order_S4_T3_S5_S5_T2_NS_24const_host_device_scalarIT1_EEPKT4_lPKT5_lS9_PT6_PKS5_21rocsparse_index_base_b,"axG",@progbits,_ZN9rocsparseL16sddmm_ell_kernelILi512ELi1E21rocsparse_complex_numIfEllS2_S2_S2_EEv20rocsparse_operation_S3_16rocsparse_order_S4_T3_S5_S5_T2_NS_24const_host_device_scalarIT1_EEPKT4_lPKT5_lS9_PT6_PKS5_21rocsparse_index_base_b,comdat
.Lfunc_end53:
	.size	_ZN9rocsparseL16sddmm_ell_kernelILi512ELi1E21rocsparse_complex_numIfEllS2_S2_S2_EEv20rocsparse_operation_S3_16rocsparse_order_S4_T3_S5_S5_T2_NS_24const_host_device_scalarIT1_EEPKT4_lPKT5_lS9_PT6_PKS5_21rocsparse_index_base_b, .Lfunc_end53-_ZN9rocsparseL16sddmm_ell_kernelILi512ELi1E21rocsparse_complex_numIfEllS2_S2_S2_EEv20rocsparse_operation_S3_16rocsparse_order_S4_T3_S5_S5_T2_NS_24const_host_device_scalarIT1_EEPKT4_lPKT5_lS9_PT6_PKS5_21rocsparse_index_base_b
                                        ; -- End function
	.section	.AMDGPU.csdata,"",@progbits
; Kernel info:
; codeLenInByte = 1840
; NumSgprs: 26
; NumVgprs: 22
; NumAgprs: 0
; TotalNumVgprs: 22
; ScratchSize: 0
; MemoryBound: 0
; FloatMode: 240
; IeeeMode: 1
; LDSByteSize: 4096 bytes/workgroup (compile time only)
; SGPRBlocks: 3
; VGPRBlocks: 2
; NumSGPRsForWavesPerEU: 26
; NumVGPRsForWavesPerEU: 22
; AccumOffset: 24
; Occupancy: 8
; WaveLimiterHint : 0
; COMPUTE_PGM_RSRC2:SCRATCH_EN: 0
; COMPUTE_PGM_RSRC2:USER_SGPR: 6
; COMPUTE_PGM_RSRC2:TRAP_HANDLER: 0
; COMPUTE_PGM_RSRC2:TGID_X_EN: 1
; COMPUTE_PGM_RSRC2:TGID_Y_EN: 0
; COMPUTE_PGM_RSRC2:TGID_Z_EN: 0
; COMPUTE_PGM_RSRC2:TIDIG_COMP_CNT: 0
; COMPUTE_PGM_RSRC3_GFX90A:ACCUM_OFFSET: 5
; COMPUTE_PGM_RSRC3_GFX90A:TG_SPLIT: 0
	.section	.text._ZN9rocsparseL23sddmm_ell_sample_kernelILi16ELi32E21rocsparse_complex_numIdElS2_EEvT2_S3_PKT3_lS3_PS4_PKS3_21rocsparse_index_base_,"axG",@progbits,_ZN9rocsparseL23sddmm_ell_sample_kernelILi16ELi32E21rocsparse_complex_numIdElS2_EEvT2_S3_PKT3_lS3_PS4_PKS3_21rocsparse_index_base_,comdat
	.globl	_ZN9rocsparseL23sddmm_ell_sample_kernelILi16ELi32E21rocsparse_complex_numIdElS2_EEvT2_S3_PKT3_lS3_PS4_PKS3_21rocsparse_index_base_ ; -- Begin function _ZN9rocsparseL23sddmm_ell_sample_kernelILi16ELi32E21rocsparse_complex_numIdElS2_EEvT2_S3_PKT3_lS3_PS4_PKS3_21rocsparse_index_base_
	.p2align	8
	.type	_ZN9rocsparseL23sddmm_ell_sample_kernelILi16ELi32E21rocsparse_complex_numIdElS2_EEvT2_S3_PKT3_lS3_PS4_PKS3_21rocsparse_index_base_,@function
_ZN9rocsparseL23sddmm_ell_sample_kernelILi16ELi32E21rocsparse_complex_numIdElS2_EEvT2_S3_PKT3_lS3_PS4_PKS3_21rocsparse_index_base_: ; @_ZN9rocsparseL23sddmm_ell_sample_kernelILi16ELi32E21rocsparse_complex_numIdElS2_EEvT2_S3_PKT3_lS3_PS4_PKS3_21rocsparse_index_base_
; %bb.0:
	s_load_dwordx4 s[0:3], s[4:5], 0x18
	v_lshrrev_b32_e32 v1, 5, v0
	v_lshl_or_b32 v2, s6, 4, v1
	v_mov_b32_e32 v1, 0
	v_mov_b32_e32 v3, v1
	s_waitcnt lgkmcnt(0)
	v_cmp_gt_i64_e32 vcc, s[2:3], v[2:3]
	s_and_saveexec_b64 s[2:3], vcc
	s_cbranch_execz .LBB54_6
; %bb.1:
	s_load_dwordx4 s[8:11], s[4:5], 0x0
	v_and_b32_e32 v0, 31, v0
	s_waitcnt lgkmcnt(0)
	v_cmp_gt_i64_e32 vcc, s[8:9], v[0:1]
	s_and_b64 exec, exec, vcc
	s_cbranch_execz .LBB54_6
; %bb.2:
	v_mad_u64_u32 v[4:5], s[2:3], v2, s8, v[0:1]
	s_load_dwordx2 s[16:17], s[4:5], 0x10
	s_load_dwordx4 s[12:15], s[4:5], 0x28
	s_load_dword s6, s[4:5], 0x38
	v_mov_b32_e32 v6, v5
	v_mad_u64_u32 v[2:3], s[2:3], v2, s9, v[6:7]
	v_mov_b32_e32 v5, v2
	v_lshlrev_b64 v[2:3], 3, v[4:5]
	s_waitcnt lgkmcnt(0)
	v_mov_b32_e32 v6, s15
	v_add_co_u32_e32 v2, vcc, s14, v2
	v_addc_co_u32_e32 v3, vcc, v6, v3, vcc
	v_lshlrev_b64 v[4:5], 4, v[4:5]
	v_mov_b32_e32 v6, s13
	v_add_co_u32_e32 v4, vcc, s12, v4
	v_addc_co_u32_e32 v5, vcc, v6, v5, vcc
	v_lshlrev_b32_e32 v6, 4, v0
	s_mov_b32 s7, 0
	v_mov_b32_e32 v7, s17
	v_add_co_u32_e32 v6, vcc, s16, v6
	s_lshl_b64 s[2:3], s[0:1], 4
	v_addc_co_u32_e32 v7, vcc, 0, v7, vcc
	s_mov_b64 s[4:5], 0
	v_mov_b32_e32 v10, s7
	s_branch .LBB54_4
.LBB54_3:                               ;   in Loop: Header=BB54_4 Depth=1
	s_or_b64 exec, exec, s[0:1]
	v_add_co_u32_e32 v0, vcc, 32, v0
	v_addc_co_u32_e32 v1, vcc, 0, v1, vcc
	v_add_co_u32_e32 v2, vcc, 0x100, v2
	v_addc_co_u32_e32 v3, vcc, 0, v3, vcc
	;; [unrolled: 2-line block ×3, first 2 shown]
	v_add_co_u32_e32 v6, vcc, 0x200, v6
	v_cmp_le_i64_e64 s[0:1], s[8:9], v[0:1]
	s_or_b64 s[4:5], s[0:1], s[4:5]
	v_addc_co_u32_e32 v7, vcc, 0, v7, vcc
	s_andn2_b64 exec, exec, s[4:5]
	s_cbranch_execz .LBB54_6
.LBB54_4:                               ; =>This Inner Loop Header: Depth=1
	global_load_dwordx2 v[8:9], v[2:3], off
	s_waitcnt vmcnt(0)
	v_subrev_co_u32_e32 v8, vcc, s6, v8
	v_subb_co_u32_e32 v9, vcc, v9, v10, vcc
	v_cmp_lt_i64_e32 vcc, -1, v[8:9]
	v_cmp_gt_i64_e64 s[0:1], s[10:11], v[8:9]
	s_and_b64 s[12:13], vcc, s[0:1]
	s_and_saveexec_b64 s[0:1], s[12:13]
	s_cbranch_execz .LBB54_3
; %bb.5:                                ;   in Loop: Header=BB54_4 Depth=1
	v_mad_u64_u32 v[12:13], s[12:13], s2, v8, v[6:7]
	v_mul_lo_u32 v9, s2, v9
	v_mul_lo_u32 v8, s3, v8
	v_add3_u32 v13, v8, v13, v9
	global_load_dwordx4 v[12:15], v[12:13], off
	s_waitcnt vmcnt(0)
	global_store_dwordx4 v[4:5], v[12:15], off
	s_branch .LBB54_3
.LBB54_6:
	s_endpgm
	.section	.rodata,"a",@progbits
	.p2align	6, 0x0
	.amdhsa_kernel _ZN9rocsparseL23sddmm_ell_sample_kernelILi16ELi32E21rocsparse_complex_numIdElS2_EEvT2_S3_PKT3_lS3_PS4_PKS3_21rocsparse_index_base_
		.amdhsa_group_segment_fixed_size 0
		.amdhsa_private_segment_fixed_size 0
		.amdhsa_kernarg_size 60
		.amdhsa_user_sgpr_count 6
		.amdhsa_user_sgpr_private_segment_buffer 1
		.amdhsa_user_sgpr_dispatch_ptr 0
		.amdhsa_user_sgpr_queue_ptr 0
		.amdhsa_user_sgpr_kernarg_segment_ptr 1
		.amdhsa_user_sgpr_dispatch_id 0
		.amdhsa_user_sgpr_flat_scratch_init 0
		.amdhsa_user_sgpr_kernarg_preload_length 0
		.amdhsa_user_sgpr_kernarg_preload_offset 0
		.amdhsa_user_sgpr_private_segment_size 0
		.amdhsa_uses_dynamic_stack 0
		.amdhsa_system_sgpr_private_segment_wavefront_offset 0
		.amdhsa_system_sgpr_workgroup_id_x 1
		.amdhsa_system_sgpr_workgroup_id_y 0
		.amdhsa_system_sgpr_workgroup_id_z 0
		.amdhsa_system_sgpr_workgroup_info 0
		.amdhsa_system_vgpr_workitem_id 0
		.amdhsa_next_free_vgpr 16
		.amdhsa_next_free_sgpr 18
		.amdhsa_accum_offset 16
		.amdhsa_reserve_vcc 1
		.amdhsa_reserve_flat_scratch 0
		.amdhsa_float_round_mode_32 0
		.amdhsa_float_round_mode_16_64 0
		.amdhsa_float_denorm_mode_32 3
		.amdhsa_float_denorm_mode_16_64 3
		.amdhsa_dx10_clamp 1
		.amdhsa_ieee_mode 1
		.amdhsa_fp16_overflow 0
		.amdhsa_tg_split 0
		.amdhsa_exception_fp_ieee_invalid_op 0
		.amdhsa_exception_fp_denorm_src 0
		.amdhsa_exception_fp_ieee_div_zero 0
		.amdhsa_exception_fp_ieee_overflow 0
		.amdhsa_exception_fp_ieee_underflow 0
		.amdhsa_exception_fp_ieee_inexact 0
		.amdhsa_exception_int_div_zero 0
	.end_amdhsa_kernel
	.section	.text._ZN9rocsparseL23sddmm_ell_sample_kernelILi16ELi32E21rocsparse_complex_numIdElS2_EEvT2_S3_PKT3_lS3_PS4_PKS3_21rocsparse_index_base_,"axG",@progbits,_ZN9rocsparseL23sddmm_ell_sample_kernelILi16ELi32E21rocsparse_complex_numIdElS2_EEvT2_S3_PKT3_lS3_PS4_PKS3_21rocsparse_index_base_,comdat
.Lfunc_end54:
	.size	_ZN9rocsparseL23sddmm_ell_sample_kernelILi16ELi32E21rocsparse_complex_numIdElS2_EEvT2_S3_PKT3_lS3_PS4_PKS3_21rocsparse_index_base_, .Lfunc_end54-_ZN9rocsparseL23sddmm_ell_sample_kernelILi16ELi32E21rocsparse_complex_numIdElS2_EEvT2_S3_PKT3_lS3_PS4_PKS3_21rocsparse_index_base_
                                        ; -- End function
	.section	.AMDGPU.csdata,"",@progbits
; Kernel info:
; codeLenInByte = 372
; NumSgprs: 22
; NumVgprs: 16
; NumAgprs: 0
; TotalNumVgprs: 16
; ScratchSize: 0
; MemoryBound: 0
; FloatMode: 240
; IeeeMode: 1
; LDSByteSize: 0 bytes/workgroup (compile time only)
; SGPRBlocks: 2
; VGPRBlocks: 1
; NumSGPRsForWavesPerEU: 22
; NumVGPRsForWavesPerEU: 16
; AccumOffset: 16
; Occupancy: 8
; WaveLimiterHint : 0
; COMPUTE_PGM_RSRC2:SCRATCH_EN: 0
; COMPUTE_PGM_RSRC2:USER_SGPR: 6
; COMPUTE_PGM_RSRC2:TRAP_HANDLER: 0
; COMPUTE_PGM_RSRC2:TGID_X_EN: 1
; COMPUTE_PGM_RSRC2:TGID_Y_EN: 0
; COMPUTE_PGM_RSRC2:TGID_Z_EN: 0
; COMPUTE_PGM_RSRC2:TIDIG_COMP_CNT: 0
; COMPUTE_PGM_RSRC3_GFX90A:ACCUM_OFFSET: 3
; COMPUTE_PGM_RSRC3_GFX90A:TG_SPLIT: 0
	.section	.text._ZN9rocsparseL23sddmm_ell_sample_kernelILi16ELi64E21rocsparse_complex_numIdElS2_EEvT2_S3_PKT3_lS3_PS4_PKS3_21rocsparse_index_base_,"axG",@progbits,_ZN9rocsparseL23sddmm_ell_sample_kernelILi16ELi64E21rocsparse_complex_numIdElS2_EEvT2_S3_PKT3_lS3_PS4_PKS3_21rocsparse_index_base_,comdat
	.globl	_ZN9rocsparseL23sddmm_ell_sample_kernelILi16ELi64E21rocsparse_complex_numIdElS2_EEvT2_S3_PKT3_lS3_PS4_PKS3_21rocsparse_index_base_ ; -- Begin function _ZN9rocsparseL23sddmm_ell_sample_kernelILi16ELi64E21rocsparse_complex_numIdElS2_EEvT2_S3_PKT3_lS3_PS4_PKS3_21rocsparse_index_base_
	.p2align	8
	.type	_ZN9rocsparseL23sddmm_ell_sample_kernelILi16ELi64E21rocsparse_complex_numIdElS2_EEvT2_S3_PKT3_lS3_PS4_PKS3_21rocsparse_index_base_,@function
_ZN9rocsparseL23sddmm_ell_sample_kernelILi16ELi64E21rocsparse_complex_numIdElS2_EEvT2_S3_PKT3_lS3_PS4_PKS3_21rocsparse_index_base_: ; @_ZN9rocsparseL23sddmm_ell_sample_kernelILi16ELi64E21rocsparse_complex_numIdElS2_EEvT2_S3_PKT3_lS3_PS4_PKS3_21rocsparse_index_base_
; %bb.0:
	s_load_dwordx4 s[0:3], s[4:5], 0x18
	v_lshrrev_b32_e32 v1, 6, v0
	v_lshl_or_b32 v2, s6, 4, v1
	v_mov_b32_e32 v1, 0
	v_mov_b32_e32 v3, v1
	s_waitcnt lgkmcnt(0)
	v_cmp_gt_i64_e32 vcc, s[2:3], v[2:3]
	s_and_saveexec_b64 s[2:3], vcc
	s_cbranch_execz .LBB55_6
; %bb.1:
	s_load_dwordx4 s[8:11], s[4:5], 0x0
	v_and_b32_e32 v0, 63, v0
	s_waitcnt lgkmcnt(0)
	v_cmp_gt_i64_e32 vcc, s[8:9], v[0:1]
	s_and_b64 exec, exec, vcc
	s_cbranch_execz .LBB55_6
; %bb.2:
	v_mad_u64_u32 v[4:5], s[2:3], v2, s8, v[0:1]
	s_load_dwordx2 s[16:17], s[4:5], 0x10
	s_load_dwordx4 s[12:15], s[4:5], 0x28
	s_load_dword s6, s[4:5], 0x38
	v_mov_b32_e32 v6, v5
	v_mad_u64_u32 v[2:3], s[2:3], v2, s9, v[6:7]
	v_mov_b32_e32 v5, v2
	v_lshlrev_b64 v[2:3], 3, v[4:5]
	s_waitcnt lgkmcnt(0)
	v_mov_b32_e32 v6, s15
	v_add_co_u32_e32 v2, vcc, s14, v2
	v_addc_co_u32_e32 v3, vcc, v6, v3, vcc
	v_lshlrev_b64 v[4:5], 4, v[4:5]
	v_mov_b32_e32 v6, s13
	v_add_co_u32_e32 v4, vcc, s12, v4
	v_addc_co_u32_e32 v5, vcc, v6, v5, vcc
	v_lshlrev_b32_e32 v6, 4, v0
	s_mov_b32 s7, 0
	v_mov_b32_e32 v7, s17
	v_add_co_u32_e32 v6, vcc, s16, v6
	s_lshl_b64 s[2:3], s[0:1], 4
	v_addc_co_u32_e32 v7, vcc, 0, v7, vcc
	s_mov_b64 s[4:5], 0
	v_mov_b32_e32 v10, s7
	s_branch .LBB55_4
.LBB55_3:                               ;   in Loop: Header=BB55_4 Depth=1
	s_or_b64 exec, exec, s[0:1]
	v_add_co_u32_e32 v0, vcc, 64, v0
	v_addc_co_u32_e32 v1, vcc, 0, v1, vcc
	v_add_co_u32_e32 v2, vcc, 0x200, v2
	v_addc_co_u32_e32 v3, vcc, 0, v3, vcc
	;; [unrolled: 2-line block ×3, first 2 shown]
	v_add_co_u32_e32 v6, vcc, 0x400, v6
	v_cmp_le_i64_e64 s[0:1], s[8:9], v[0:1]
	s_or_b64 s[4:5], s[0:1], s[4:5]
	v_addc_co_u32_e32 v7, vcc, 0, v7, vcc
	s_andn2_b64 exec, exec, s[4:5]
	s_cbranch_execz .LBB55_6
.LBB55_4:                               ; =>This Inner Loop Header: Depth=1
	global_load_dwordx2 v[8:9], v[2:3], off
	s_waitcnt vmcnt(0)
	v_subrev_co_u32_e32 v8, vcc, s6, v8
	v_subb_co_u32_e32 v9, vcc, v9, v10, vcc
	v_cmp_lt_i64_e32 vcc, -1, v[8:9]
	v_cmp_gt_i64_e64 s[0:1], s[10:11], v[8:9]
	s_and_b64 s[12:13], vcc, s[0:1]
	s_and_saveexec_b64 s[0:1], s[12:13]
	s_cbranch_execz .LBB55_3
; %bb.5:                                ;   in Loop: Header=BB55_4 Depth=1
	v_mad_u64_u32 v[12:13], s[12:13], s2, v8, v[6:7]
	v_mul_lo_u32 v9, s2, v9
	v_mul_lo_u32 v8, s3, v8
	v_add3_u32 v13, v8, v13, v9
	global_load_dwordx4 v[12:15], v[12:13], off
	s_waitcnt vmcnt(0)
	global_store_dwordx4 v[4:5], v[12:15], off
	s_branch .LBB55_3
.LBB55_6:
	s_endpgm
	.section	.rodata,"a",@progbits
	.p2align	6, 0x0
	.amdhsa_kernel _ZN9rocsparseL23sddmm_ell_sample_kernelILi16ELi64E21rocsparse_complex_numIdElS2_EEvT2_S3_PKT3_lS3_PS4_PKS3_21rocsparse_index_base_
		.amdhsa_group_segment_fixed_size 0
		.amdhsa_private_segment_fixed_size 0
		.amdhsa_kernarg_size 60
		.amdhsa_user_sgpr_count 6
		.amdhsa_user_sgpr_private_segment_buffer 1
		.amdhsa_user_sgpr_dispatch_ptr 0
		.amdhsa_user_sgpr_queue_ptr 0
		.amdhsa_user_sgpr_kernarg_segment_ptr 1
		.amdhsa_user_sgpr_dispatch_id 0
		.amdhsa_user_sgpr_flat_scratch_init 0
		.amdhsa_user_sgpr_kernarg_preload_length 0
		.amdhsa_user_sgpr_kernarg_preload_offset 0
		.amdhsa_user_sgpr_private_segment_size 0
		.amdhsa_uses_dynamic_stack 0
		.amdhsa_system_sgpr_private_segment_wavefront_offset 0
		.amdhsa_system_sgpr_workgroup_id_x 1
		.amdhsa_system_sgpr_workgroup_id_y 0
		.amdhsa_system_sgpr_workgroup_id_z 0
		.amdhsa_system_sgpr_workgroup_info 0
		.amdhsa_system_vgpr_workitem_id 0
		.amdhsa_next_free_vgpr 16
		.amdhsa_next_free_sgpr 18
		.amdhsa_accum_offset 16
		.amdhsa_reserve_vcc 1
		.amdhsa_reserve_flat_scratch 0
		.amdhsa_float_round_mode_32 0
		.amdhsa_float_round_mode_16_64 0
		.amdhsa_float_denorm_mode_32 3
		.amdhsa_float_denorm_mode_16_64 3
		.amdhsa_dx10_clamp 1
		.amdhsa_ieee_mode 1
		.amdhsa_fp16_overflow 0
		.amdhsa_tg_split 0
		.amdhsa_exception_fp_ieee_invalid_op 0
		.amdhsa_exception_fp_denorm_src 0
		.amdhsa_exception_fp_ieee_div_zero 0
		.amdhsa_exception_fp_ieee_overflow 0
		.amdhsa_exception_fp_ieee_underflow 0
		.amdhsa_exception_fp_ieee_inexact 0
		.amdhsa_exception_int_div_zero 0
	.end_amdhsa_kernel
	.section	.text._ZN9rocsparseL23sddmm_ell_sample_kernelILi16ELi64E21rocsparse_complex_numIdElS2_EEvT2_S3_PKT3_lS3_PS4_PKS3_21rocsparse_index_base_,"axG",@progbits,_ZN9rocsparseL23sddmm_ell_sample_kernelILi16ELi64E21rocsparse_complex_numIdElS2_EEvT2_S3_PKT3_lS3_PS4_PKS3_21rocsparse_index_base_,comdat
.Lfunc_end55:
	.size	_ZN9rocsparseL23sddmm_ell_sample_kernelILi16ELi64E21rocsparse_complex_numIdElS2_EEvT2_S3_PKT3_lS3_PS4_PKS3_21rocsparse_index_base_, .Lfunc_end55-_ZN9rocsparseL23sddmm_ell_sample_kernelILi16ELi64E21rocsparse_complex_numIdElS2_EEvT2_S3_PKT3_lS3_PS4_PKS3_21rocsparse_index_base_
                                        ; -- End function
	.section	.AMDGPU.csdata,"",@progbits
; Kernel info:
; codeLenInByte = 372
; NumSgprs: 22
; NumVgprs: 16
; NumAgprs: 0
; TotalNumVgprs: 16
; ScratchSize: 0
; MemoryBound: 0
; FloatMode: 240
; IeeeMode: 1
; LDSByteSize: 0 bytes/workgroup (compile time only)
; SGPRBlocks: 2
; VGPRBlocks: 1
; NumSGPRsForWavesPerEU: 22
; NumVGPRsForWavesPerEU: 16
; AccumOffset: 16
; Occupancy: 8
; WaveLimiterHint : 0
; COMPUTE_PGM_RSRC2:SCRATCH_EN: 0
; COMPUTE_PGM_RSRC2:USER_SGPR: 6
; COMPUTE_PGM_RSRC2:TRAP_HANDLER: 0
; COMPUTE_PGM_RSRC2:TGID_X_EN: 1
; COMPUTE_PGM_RSRC2:TGID_Y_EN: 0
; COMPUTE_PGM_RSRC2:TGID_Z_EN: 0
; COMPUTE_PGM_RSRC2:TIDIG_COMP_CNT: 0
; COMPUTE_PGM_RSRC3_GFX90A:ACCUM_OFFSET: 3
; COMPUTE_PGM_RSRC3_GFX90A:TG_SPLIT: 0
	.section	.text._ZN9rocsparseL16sddmm_ell_kernelILi512ELi8E21rocsparse_complex_numIdEllS2_S2_S2_EEv20rocsparse_operation_S3_16rocsparse_order_S4_T3_S5_S5_T2_NS_24const_host_device_scalarIT1_EEPKT4_lPKT5_lS9_PT6_PKS5_21rocsparse_index_base_b,"axG",@progbits,_ZN9rocsparseL16sddmm_ell_kernelILi512ELi8E21rocsparse_complex_numIdEllS2_S2_S2_EEv20rocsparse_operation_S3_16rocsparse_order_S4_T3_S5_S5_T2_NS_24const_host_device_scalarIT1_EEPKT4_lPKT5_lS9_PT6_PKS5_21rocsparse_index_base_b,comdat
	.globl	_ZN9rocsparseL16sddmm_ell_kernelILi512ELi8E21rocsparse_complex_numIdEllS2_S2_S2_EEv20rocsparse_operation_S3_16rocsparse_order_S4_T3_S5_S5_T2_NS_24const_host_device_scalarIT1_EEPKT4_lPKT5_lS9_PT6_PKS5_21rocsparse_index_base_b ; -- Begin function _ZN9rocsparseL16sddmm_ell_kernelILi512ELi8E21rocsparse_complex_numIdEllS2_S2_S2_EEv20rocsparse_operation_S3_16rocsparse_order_S4_T3_S5_S5_T2_NS_24const_host_device_scalarIT1_EEPKT4_lPKT5_lS9_PT6_PKS5_21rocsparse_index_base_b
	.p2align	8
	.type	_ZN9rocsparseL16sddmm_ell_kernelILi512ELi8E21rocsparse_complex_numIdEllS2_S2_S2_EEv20rocsparse_operation_S3_16rocsparse_order_S4_T3_S5_S5_T2_NS_24const_host_device_scalarIT1_EEPKT4_lPKT5_lS9_PT6_PKS5_21rocsparse_index_base_b,@function
_ZN9rocsparseL16sddmm_ell_kernelILi512ELi8E21rocsparse_complex_numIdEllS2_S2_S2_EEv20rocsparse_operation_S3_16rocsparse_order_S4_T3_S5_S5_T2_NS_24const_host_device_scalarIT1_EEPKT4_lPKT5_lS9_PT6_PKS5_21rocsparse_index_base_b: ; @_ZN9rocsparseL16sddmm_ell_kernelILi512ELi8E21rocsparse_complex_numIdEllS2_S2_S2_EEv20rocsparse_operation_S3_16rocsparse_order_S4_T3_S5_S5_T2_NS_24const_host_device_scalarIT1_EEPKT4_lPKT5_lS9_PT6_PKS5_21rocsparse_index_base_b
; %bb.0:
	s_load_dwordx2 s[10:11], s[6:7], 0x80
	s_load_dwordx8 s[12:19], s[6:7], 0x20
	s_load_dwordx4 s[20:23], s[6:7], 0x58
	s_load_dwordx2 s[2:3], s[6:7], 0x68
	s_mov_b64 s[24:25], src_shared_base
	s_load_dwordx2 s[4:5], s[4:5], 0x4
	s_waitcnt lgkmcnt(0)
	s_bitcmp1_b32 s11, 0
	s_cselect_b64 s[0:1], -1, 0
	s_and_b64 vcc, s[0:1], exec
	s_cselect_b32 s9, s25, s17
	s_lshr_b32 s4, s4, 16
	v_and_b32_e32 v14, 0x3ff, v0
	s_mul_i32 s4, s4, s5
	v_mul_lo_u32 v1, s4, v14
	v_bfe_u32 v2, v0, 10, 10
	v_mad_u32_u24 v1, v2, s5, v1
	v_bfe_u32 v0, v0, 20, 10
	v_add_lshl_u32 v6, v1, v0, 3
	v_mov_b32_e32 v4, s16
	v_add_u32_e32 v5, 0x3000, v6
	v_pk_mov_b32 v[0:1], s[16:17], s[16:17] op_sel:[0,1]
	v_pk_mov_b32 v[2:3], s[22:23], s[22:23] op_sel:[0,1]
	ds_write2st64_b64 v6, v[2:3], v[0:1] offset0:16 offset1:24
	v_cndmask_b32_e64 v0, v4, v5, s[0:1]
	v_mov_b32_e32 v1, s9
	flat_load_dwordx2 v[4:5], v[0:1]
	s_xor_b64 s[4:5], s[0:1], -1
	v_add_u32_e32 v0, 0x2000, v6
	v_pk_mov_b32 v[6:7], s[18:19], s[18:19] op_sel:[0,1]
	s_cbranch_vccnz .LBB56_2
; %bb.1:
	v_pk_mov_b32 v[2:3], s[16:17], s[16:17] op_sel:[0,1]
	flat_load_dwordx2 v[6:7], v[2:3] offset:8
.LBB56_2:
	s_and_b64 s[16:17], s[0:1], exec
	s_cselect_b32 s9, s25, s23
	v_mov_b32_e32 v1, s22
	v_cndmask_b32_e64 v0, v1, v0, s[0:1]
	v_mov_b32_e32 v1, s9
	flat_load_dwordx2 v[8:9], v[0:1]
	s_andn2_b64 vcc, exec, s[4:5]
	v_pk_mov_b32 v[10:11], s[2:3], s[2:3] op_sel:[0,1]
	s_cbranch_vccnz .LBB56_4
; %bb.3:
	v_pk_mov_b32 v[0:1], s[22:23], s[22:23] op_sel:[0,1]
	flat_load_dwordx2 v[10:11], v[0:1] offset:8
.LBB56_4:
	s_waitcnt vmcnt(0) lgkmcnt(0)
	v_cmp_eq_f64_e32 vcc, 0, v[4:5]
	v_cmp_eq_f64_e64 s[0:1], 0, v[6:7]
	s_and_b64 s[4:5], vcc, s[0:1]
	s_mov_b64 s[0:1], -1
	s_and_saveexec_b64 s[2:3], s[4:5]
; %bb.5:
	v_cmp_neq_f64_e32 vcc, 1.0, v[8:9]
	v_cmp_neq_f64_e64 s[0:1], 0, v[10:11]
	s_or_b64 s[0:1], vcc, s[0:1]
	s_orn2_b64 s[0:1], s[0:1], exec
; %bb.6:
	s_or_b64 exec, exec, s[2:3]
	s_and_saveexec_b64 s[2:3], s[0:1]
	s_cbranch_execz .LBB56_41
; %bb.7:
	v_lshrrev_b32_e32 v22, 3, v14
	v_lshl_or_b32 v12, s8, 6, v22
	v_mov_b32_e32 v13, 0
	v_cmp_gt_i64_e32 vcc, s[14:15], v[12:13]
	s_and_b64 exec, exec, vcc
	s_cbranch_execz .LBB56_41
; %bb.8:
	s_load_dwordx2 s[8:9], s[6:7], 0x10
	s_load_dwordx2 s[4:5], s[6:7], 0x78
	s_mov_b32 s0, 0
	s_waitcnt lgkmcnt(0)
	s_mov_b32 s1, s9
	s_cmp_lg_u64 s[0:1], 0
	s_cbranch_scc0 .LBB56_16
; %bb.9:
	s_ashr_i32 s0, s9, 31
	s_add_u32 s2, s8, s0
	s_mov_b32 s1, s0
	s_addc_u32 s3, s9, s0
	s_xor_b64 s[16:17], s[2:3], s[0:1]
	v_cvt_f32_u32_e32 v0, s16
	v_cvt_f32_u32_e32 v1, s17
	s_sub_u32 s0, 0, s16
	s_subb_u32 s1, 0, s17
	v_madmk_f32 v0, v1, 0x4f800000, v0
	v_rcp_f32_e32 v0, v0
	v_mul_f32_e32 v0, 0x5f7ffffc, v0
	v_mul_f32_e32 v1, 0x2f800000, v0
	v_trunc_f32_e32 v1, v1
	v_madmk_f32 v0, v1, 0xcf800000, v0
	v_cvt_u32_f32_e32 v1, v1
	v_cvt_u32_f32_e32 v0, v0
	v_mul_lo_u32 v2, s0, v1
	v_mul_hi_u32 v15, s0, v0
	v_mul_lo_u32 v3, s1, v0
	v_add_u32_e32 v2, v15, v2
	v_add_u32_e32 v2, v2, v3
	v_mul_lo_u32 v16, s0, v0
	v_mul_lo_u32 v15, v0, v2
	v_mul_hi_u32 v17, v0, v16
	v_mul_hi_u32 v3, v0, v2
	v_add_co_u32_e32 v15, vcc, v17, v15
	v_addc_co_u32_e32 v3, vcc, 0, v3, vcc
	v_mul_hi_u32 v18, v1, v16
	v_mul_lo_u32 v16, v1, v16
	v_add_co_u32_e32 v15, vcc, v15, v16
	v_mul_hi_u32 v17, v1, v2
	v_addc_co_u32_e32 v3, vcc, v3, v18, vcc
	v_addc_co_u32_e32 v15, vcc, 0, v17, vcc
	v_mul_lo_u32 v2, v1, v2
	v_add_co_u32_e32 v2, vcc, v3, v2
	v_addc_co_u32_e32 v3, vcc, 0, v15, vcc
	v_add_co_u32_e32 v0, vcc, v0, v2
	v_addc_co_u32_e32 v1, vcc, v1, v3, vcc
	v_mul_lo_u32 v2, s0, v1
	v_mul_hi_u32 v3, s0, v0
	v_add_u32_e32 v2, v3, v2
	v_mul_lo_u32 v3, s1, v0
	v_add_u32_e32 v2, v2, v3
	v_mul_lo_u32 v15, s0, v0
	v_mul_hi_u32 v16, v1, v15
	v_mul_lo_u32 v17, v1, v15
	v_mul_lo_u32 v19, v0, v2
	v_mul_hi_u32 v15, v0, v15
	v_mul_hi_u32 v18, v0, v2
	v_add_co_u32_e32 v15, vcc, v15, v19
	v_addc_co_u32_e32 v18, vcc, 0, v18, vcc
	v_add_co_u32_e32 v15, vcc, v15, v17
	v_mul_hi_u32 v3, v1, v2
	v_addc_co_u32_e32 v15, vcc, v18, v16, vcc
	v_addc_co_u32_e32 v3, vcc, 0, v3, vcc
	v_mul_lo_u32 v2, v1, v2
	v_add_co_u32_e32 v2, vcc, v15, v2
	v_addc_co_u32_e32 v3, vcc, 0, v3, vcc
	v_add_co_u32_e32 v2, vcc, v0, v2
	v_addc_co_u32_e32 v3, vcc, v1, v3, vcc
	v_mad_u64_u32 v[0:1], s[0:1], v12, v3, 0
	v_mul_hi_u32 v15, v12, v2
	v_add_co_u32_e32 v15, vcc, v15, v0
	v_addc_co_u32_e32 v16, vcc, 0, v1, vcc
	v_mad_u64_u32 v[0:1], s[0:1], 0, v3, 0
	v_mad_u64_u32 v[2:3], s[0:1], 0, v2, 0
	v_add_co_u32_e32 v2, vcc, v15, v2
	v_addc_co_u32_e32 v2, vcc, v16, v3, vcc
	v_addc_co_u32_e32 v1, vcc, 0, v1, vcc
	v_add_co_u32_e32 v0, vcc, v2, v0
	v_addc_co_u32_e32 v1, vcc, 0, v1, vcc
	v_mul_lo_u32 v2, s17, v0
	v_mul_lo_u32 v3, s16, v1
	v_mad_u64_u32 v[0:1], s[0:1], s16, v0, 0
	v_add3_u32 v1, v1, v3, v2
	v_sub_u32_e32 v2, 0, v1
	v_mov_b32_e32 v3, s17
	v_sub_co_u32_e32 v0, vcc, v12, v0
	v_subb_co_u32_e64 v2, s[0:1], v2, v3, vcc
	v_subrev_co_u32_e64 v15, s[0:1], s16, v0
	v_subbrev_co_u32_e64 v16, s[2:3], 0, v2, s[0:1]
	v_cmp_le_u32_e64 s[2:3], s17, v16
	v_cndmask_b32_e64 v17, 0, -1, s[2:3]
	v_cmp_le_u32_e64 s[2:3], s16, v15
	v_subb_co_u32_e64 v2, s[0:1], v2, v3, s[0:1]
	v_cndmask_b32_e64 v18, 0, -1, s[2:3]
	v_cmp_eq_u32_e64 s[2:3], s17, v16
	v_subrev_co_u32_e64 v3, s[0:1], s16, v15
	v_cndmask_b32_e64 v17, v17, v18, s[2:3]
	v_subbrev_co_u32_e64 v2, s[0:1], 0, v2, s[0:1]
	v_subb_co_u32_e32 v1, vcc, 0, v1, vcc
	v_cmp_ne_u32_e64 s[0:1], 0, v17
	v_cmp_le_u32_e32 vcc, s17, v1
	v_cndmask_b32_e64 v2, v16, v2, s[0:1]
	v_cndmask_b32_e64 v16, 0, -1, vcc
	v_cmp_le_u32_e32 vcc, s16, v0
	v_cndmask_b32_e64 v17, 0, -1, vcc
	v_cmp_eq_u32_e32 vcc, s17, v1
	v_cndmask_b32_e32 v16, v16, v17, vcc
	v_cmp_ne_u32_e32 vcc, 0, v16
	v_cndmask_b32_e32 v1, v1, v2, vcc
	v_cndmask_b32_e64 v2, v15, v3, s[0:1]
	v_cndmask_b32_e32 v0, v0, v2, vcc
	v_subrev_co_u32_e32 v2, vcc, 0, v0
	v_subbrev_co_u32_e32 v3, vcc, 0, v1, vcc
	s_cbranch_execnz .LBB56_11
.LBB56_10:
	v_cvt_f32_u32_e32 v0, s8
	s_sub_i32 s0, 0, s8
	v_mov_b32_e32 v3, 0
	v_rcp_iflag_f32_e32 v0, v0
	v_mul_f32_e32 v0, 0x4f7ffffe, v0
	v_cvt_u32_f32_e32 v0, v0
	v_mul_lo_u32 v1, s0, v0
	v_mul_hi_u32 v1, v0, v1
	v_add_u32_e32 v0, v0, v1
	v_mul_hi_u32 v0, v12, v0
	v_mul_lo_u32 v0, v0, s8
	v_sub_u32_e32 v0, v12, v0
	v_subrev_u32_e32 v1, s8, v0
	v_cmp_le_u32_e32 vcc, s8, v0
	v_cndmask_b32_e32 v0, v0, v1, vcc
	v_subrev_u32_e32 v1, s8, v0
	v_cmp_le_u32_e32 vcc, s8, v0
	v_cndmask_b32_e32 v2, v0, v1, vcc
.LBB56_11:
	v_lshlrev_b64 v[0:1], 3, v[12:13]
	v_mov_b32_e32 v15, s5
	v_add_co_u32_e32 v0, vcc, s4, v0
	v_addc_co_u32_e32 v1, vcc, v15, v1, vcc
	global_load_dwordx2 v[0:1], v[0:1], off
	s_mov_b64 s[16:17], -1
	s_waitcnt vmcnt(0)
	v_subrev_co_u32_e32 v0, vcc, s10, v0
	v_subbrev_co_u32_e32 v1, vcc, 0, v1, vcc
	v_cmp_lt_i64_e32 vcc, -1, v[0:1]
	s_and_b64 exec, exec, vcc
	s_cbranch_execz .LBB56_41
; %bb.12:
	s_load_dwordx4 s[0:3], s[6:7], 0x0
	s_load_dwordx2 s[4:5], s[6:7], 0x48
	s_waitcnt lgkmcnt(0)
	s_cmp_eq_u32 s2, 1
	s_cselect_b64 s[8:9], -1, 0
	s_cmpk_eq_i32 s0, 0x6f
	s_cselect_b64 s[10:11], -1, 0
	s_cmpk_lg_i32 s0, 0x6f
	s_cselect_b64 s[14:15], -1, 0
	s_cmp_lg_u32 s2, 1
	s_cbranch_scc0 .LBB56_17
; %bb.13:
	s_andn2_b64 vcc, exec, s[10:11]
	v_pk_mov_b32 v[16:17], v[2:3], v[2:3] op_sel:[0,1]
	s_cbranch_vccnz .LBB56_15
; %bb.14:
	v_mul_lo_u32 v15, v3, s4
	v_mul_lo_u32 v18, v2, s5
	v_mad_u64_u32 v[16:17], s[16:17], v2, s4, 0
	v_add3_u32 v17, v17, v18, v15
.LBB56_15:
	s_cbranch_execz .LBB56_18
	s_branch .LBB56_21
.LBB56_16:
                                        ; implicit-def: $vgpr2_vgpr3
	s_branch .LBB56_10
.LBB56_17:
                                        ; implicit-def: $vgpr16_vgpr17
	s_andn2_b64 vcc, exec, s[16:17]
	s_cbranch_vccnz .LBB56_21
.LBB56_18:
	s_andn2_b64 vcc, exec, s[14:15]
	s_cbranch_vccnz .LBB56_20
; %bb.19:
	v_mul_lo_u32 v15, v3, s4
	v_mul_lo_u32 v16, v2, s5
	v_mad_u64_u32 v[2:3], s[14:15], v2, s4, 0
	v_add3_u32 v3, v3, v16, v15
.LBB56_20:
	v_pk_mov_b32 v[16:17], v[2:3], v[2:3] op_sel:[0,1]
.LBB56_21:
	s_cmp_eq_u32 s3, 1
	s_cselect_b64 s[14:15], -1, 0
	s_cmpk_eq_i32 s1, 0x6f
	s_cselect_b64 s[16:17], -1, 0
	s_cmpk_lg_i32 s1, 0x6f
	s_cselect_b64 s[0:1], -1, 0
	s_cmp_lg_u32 s3, 1
	s_cbranch_scc0 .LBB56_25
; %bb.22:
	s_andn2_b64 vcc, exec, s[0:1]
	v_pk_mov_b32 v[18:19], v[0:1], v[0:1] op_sel:[0,1]
	s_cbranch_vccnz .LBB56_24
; %bb.23:
	v_mul_lo_u32 v2, v1, s20
	v_mul_lo_u32 v3, v0, s21
	v_mad_u64_u32 v[18:19], s[0:1], v0, s20, 0
	v_add3_u32 v19, v19, v3, v2
.LBB56_24:
	s_cbranch_execz .LBB56_26
	s_branch .LBB56_29
.LBB56_25:
                                        ; implicit-def: $vgpr18_vgpr19
.LBB56_26:
	s_andn2_b64 vcc, exec, s[16:17]
	s_cbranch_vccnz .LBB56_28
; %bb.27:
	v_mul_lo_u32 v2, v1, s20
	v_mul_lo_u32 v3, v0, s21
	v_mad_u64_u32 v[0:1], s[0:1], v0, s20, 0
	v_add3_u32 v1, v1, v3, v2
.LBB56_28:
	v_pk_mov_b32 v[18:19], v[0:1], v[0:1] op_sel:[0,1]
.LBB56_29:
	s_load_dwordx2 s[0:1], s[6:7], 0x70
	v_and_b32_e32 v14, 7, v14
	v_mov_b32_e32 v15, 0
	v_pk_mov_b32 v[2:3], 0, 0
	v_cmp_gt_i64_e32 vcc, s[12:13], v[14:15]
	v_pk_mov_b32 v[0:1], v[2:3], v[2:3] op_sel:[0,1]
	s_and_saveexec_b64 s[2:3], vcc
	s_cbranch_execz .LBB56_33
; %bb.30:
	s_load_dwordx2 s[18:19], s[6:7], 0x40
	s_load_dwordx2 s[22:23], s[6:7], 0x50
	s_xor_b64 s[6:7], s[10:11], s[8:9]
	s_and_b64 s[6:7], s[6:7], exec
	s_cselect_b32 s4, 1, s4
	v_mad_u64_u32 v[0:1], s[8:9], s4, v14, 0
	s_cselect_b32 s5, 0, s5
	v_mov_b32_e32 v2, v1
	v_mad_u64_u32 v[2:3], s[8:9], s5, v14, v[2:3]
	v_mov_b32_e32 v1, v2
	v_lshlrev_b64 v[0:1], 4, v[0:1]
	v_lshlrev_b64 v[2:3], 4, v[16:17]
	v_add_co_u32_e32 v0, vcc, v0, v2
	v_addc_co_u32_e32 v1, vcc, v1, v3, vcc
	s_xor_b64 s[6:7], s[16:17], s[14:15]
	s_waitcnt lgkmcnt(0)
	v_mov_b32_e32 v2, s19
	v_add_co_u32_e32 v0, vcc, s18, v0
	s_and_b64 s[6:7], s[6:7], exec
	v_addc_co_u32_e32 v1, vcc, v1, v2, vcc
	s_cselect_b32 s6, s20, 1
	v_add_co_u32_e32 v16, vcc, 8, v0
	v_addc_co_u32_e32 v17, vcc, 0, v1, vcc
	v_mad_u64_u32 v[0:1], s[8:9], s6, v14, 0
	s_cselect_b32 s7, s21, 0
	v_mov_b32_e32 v2, v1
	v_mad_u64_u32 v[2:3], s[8:9], s7, v14, v[2:3]
	v_mov_b32_e32 v1, v2
	v_lshlrev_b64 v[0:1], 4, v[0:1]
	v_lshlrev_b64 v[2:3], 4, v[18:19]
	v_add_co_u32_e32 v0, vcc, v0, v2
	v_addc_co_u32_e32 v1, vcc, v1, v3, vcc
	v_mov_b32_e32 v2, s23
	v_add_co_u32_e32 v0, vcc, s22, v0
	v_addc_co_u32_e32 v1, vcc, v1, v2, vcc
	s_lshl_b64 s[4:5], s[4:5], 7
	v_add_co_u32_e32 v18, vcc, 8, v0
	s_lshl_b64 s[8:9], s[6:7], 7
	v_pk_mov_b32 v[2:3], 0, 0
	v_addc_co_u32_e32 v19, vcc, 0, v1, vcc
	s_mov_b64 s[6:7], 0
	v_mov_b32_e32 v23, s5
	v_mov_b32_e32 v24, s9
	v_pk_mov_b32 v[20:21], v[14:15], v[14:15] op_sel:[0,1]
	v_pk_mov_b32 v[0:1], v[2:3], v[2:3] op_sel:[0,1]
.LBB56_31:                              ; =>This Inner Loop Header: Depth=1
	global_load_dwordx4 v[26:29], v[18:19], off offset:-8
	global_load_dwordx4 v[30:33], v[16:17], off offset:-8
	v_add_co_u32_e32 v20, vcc, 8, v20
	v_addc_co_u32_e32 v21, vcc, 0, v21, vcc
	v_add_co_u32_e32 v16, vcc, s4, v16
	v_addc_co_u32_e32 v17, vcc, v17, v23, vcc
	;; [unrolled: 2-line block ×3, first 2 shown]
	v_cmp_le_i64_e32 vcc, s[12:13], v[20:21]
	s_or_b64 s[6:7], vcc, s[6:7]
	s_waitcnt vmcnt(0)
	v_mul_f64 v[34:35], v[28:29], -v[32:33]
	v_mul_f64 v[28:29], v[28:29], v[30:31]
	v_fmac_f64_e32 v[34:35], v[30:31], v[26:27]
	v_fmac_f64_e32 v[28:29], v[32:33], v[26:27]
	v_add_f64 v[0:1], v[0:1], v[34:35]
	v_add_f64 v[2:3], v[2:3], v[28:29]
	s_andn2_b64 exec, exec, s[6:7]
	s_cbranch_execnz .LBB56_31
; %bb.32:
	s_or_b64 exec, exec, s[6:7]
.LBB56_33:
	s_or_b64 exec, exec, s[2:3]
	v_lshlrev_b32_e32 v15, 4, v14
	v_lshl_or_b32 v15, v22, 7, v15
	v_cmp_gt_u32_e32 vcc, 4, v14
	ds_write_b128 v15, v[0:3]
	s_waitcnt lgkmcnt(0)
	s_barrier
	s_and_saveexec_b64 s[2:3], vcc
	s_cbranch_execz .LBB56_35
; %bb.34:
	ds_read_b128 v[0:3], v15 offset:64
	ds_read_b128 v[16:19], v15
	s_waitcnt lgkmcnt(0)
	v_add_f64 v[0:1], v[0:1], v[16:17]
	v_add_f64 v[2:3], v[2:3], v[18:19]
	ds_write_b128 v15, v[0:3]
.LBB56_35:
	s_or_b64 exec, exec, s[2:3]
	v_cmp_gt_u32_e32 vcc, 2, v14
	s_waitcnt lgkmcnt(0)
	s_barrier
	s_and_saveexec_b64 s[2:3], vcc
	s_cbranch_execz .LBB56_37
; %bb.36:
	ds_read_b128 v[0:3], v15
	ds_read_b128 v[16:19], v15 offset:32
	s_waitcnt lgkmcnt(0)
	v_add_f64 v[0:1], v[16:17], v[0:1]
	v_add_f64 v[2:3], v[18:19], v[2:3]
	ds_write_b128 v15, v[0:3]
.LBB56_37:
	s_or_b64 exec, exec, s[2:3]
	v_cmp_eq_u32_e32 vcc, 0, v14
	v_lshlrev_b32_e32 v0, 7, v22
	s_waitcnt lgkmcnt(0)
	s_barrier
	s_and_saveexec_b64 s[2:3], vcc
	s_cbranch_execz .LBB56_39
; %bb.38:
	ds_read_b128 v[16:19], v0 offset:16
	ds_read_b128 v[20:23], v15
	s_waitcnt lgkmcnt(0)
	v_add_f64 v[16:17], v[16:17], v[20:21]
	v_add_f64 v[18:19], v[18:19], v[22:23]
	ds_write_b128 v15, v[16:19]
.LBB56_39:
	s_or_b64 exec, exec, s[2:3]
	s_waitcnt lgkmcnt(0)
	s_barrier
	s_and_b64 exec, exec, vcc
	s_cbranch_execz .LBB56_41
; %bb.40:
	v_lshlrev_b64 v[2:3], 4, v[12:13]
	v_mov_b32_e32 v1, s1
	v_add_co_u32_e32 v16, vcc, s0, v2
	v_addc_co_u32_e32 v17, vcc, v1, v3, vcc
	global_load_dwordx4 v[12:15], v[16:17], off
	ds_read_b128 v[0:3], v0
	s_waitcnt lgkmcnt(0)
	v_mul_f64 v[18:19], v[2:3], -v[6:7]
	v_mul_f64 v[2:3], v[4:5], v[2:3]
	v_fmac_f64_e32 v[18:19], v[4:5], v[0:1]
	v_fmac_f64_e32 v[2:3], v[6:7], v[0:1]
	s_waitcnt vmcnt(0)
	v_mul_f64 v[0:1], v[10:11], -v[14:15]
	v_mul_f64 v[4:5], v[10:11], v[12:13]
	v_fmac_f64_e32 v[0:1], v[12:13], v[8:9]
	v_fmac_f64_e32 v[4:5], v[14:15], v[8:9]
	v_add_f64 v[0:1], v[0:1], v[18:19]
	v_add_f64 v[2:3], v[4:5], v[2:3]
	global_store_dwordx4 v[16:17], v[0:3], off
.LBB56_41:
	s_endpgm
	.section	.rodata,"a",@progbits
	.p2align	6, 0x0
	.amdhsa_kernel _ZN9rocsparseL16sddmm_ell_kernelILi512ELi8E21rocsparse_complex_numIdEllS2_S2_S2_EEv20rocsparse_operation_S3_16rocsparse_order_S4_T3_S5_S5_T2_NS_24const_host_device_scalarIT1_EEPKT4_lPKT5_lS9_PT6_PKS5_21rocsparse_index_base_b
		.amdhsa_group_segment_fixed_size 16384
		.amdhsa_private_segment_fixed_size 0
		.amdhsa_kernarg_size 136
		.amdhsa_user_sgpr_count 8
		.amdhsa_user_sgpr_private_segment_buffer 1
		.amdhsa_user_sgpr_dispatch_ptr 1
		.amdhsa_user_sgpr_queue_ptr 0
		.amdhsa_user_sgpr_kernarg_segment_ptr 1
		.amdhsa_user_sgpr_dispatch_id 0
		.amdhsa_user_sgpr_flat_scratch_init 0
		.amdhsa_user_sgpr_kernarg_preload_length 0
		.amdhsa_user_sgpr_kernarg_preload_offset 0
		.amdhsa_user_sgpr_private_segment_size 0
		.amdhsa_uses_dynamic_stack 0
		.amdhsa_system_sgpr_private_segment_wavefront_offset 0
		.amdhsa_system_sgpr_workgroup_id_x 1
		.amdhsa_system_sgpr_workgroup_id_y 0
		.amdhsa_system_sgpr_workgroup_id_z 0
		.amdhsa_system_sgpr_workgroup_info 0
		.amdhsa_system_vgpr_workitem_id 2
		.amdhsa_next_free_vgpr 36
		.amdhsa_next_free_sgpr 26
		.amdhsa_accum_offset 36
		.amdhsa_reserve_vcc 1
		.amdhsa_reserve_flat_scratch 0
		.amdhsa_float_round_mode_32 0
		.amdhsa_float_round_mode_16_64 0
		.amdhsa_float_denorm_mode_32 3
		.amdhsa_float_denorm_mode_16_64 3
		.amdhsa_dx10_clamp 1
		.amdhsa_ieee_mode 1
		.amdhsa_fp16_overflow 0
		.amdhsa_tg_split 0
		.amdhsa_exception_fp_ieee_invalid_op 0
		.amdhsa_exception_fp_denorm_src 0
		.amdhsa_exception_fp_ieee_div_zero 0
		.amdhsa_exception_fp_ieee_overflow 0
		.amdhsa_exception_fp_ieee_underflow 0
		.amdhsa_exception_fp_ieee_inexact 0
		.amdhsa_exception_int_div_zero 0
	.end_amdhsa_kernel
	.section	.text._ZN9rocsparseL16sddmm_ell_kernelILi512ELi8E21rocsparse_complex_numIdEllS2_S2_S2_EEv20rocsparse_operation_S3_16rocsparse_order_S4_T3_S5_S5_T2_NS_24const_host_device_scalarIT1_EEPKT4_lPKT5_lS9_PT6_PKS5_21rocsparse_index_base_b,"axG",@progbits,_ZN9rocsparseL16sddmm_ell_kernelILi512ELi8E21rocsparse_complex_numIdEllS2_S2_S2_EEv20rocsparse_operation_S3_16rocsparse_order_S4_T3_S5_S5_T2_NS_24const_host_device_scalarIT1_EEPKT4_lPKT5_lS9_PT6_PKS5_21rocsparse_index_base_b,comdat
.Lfunc_end56:
	.size	_ZN9rocsparseL16sddmm_ell_kernelILi512ELi8E21rocsparse_complex_numIdEllS2_S2_S2_EEv20rocsparse_operation_S3_16rocsparse_order_S4_T3_S5_S5_T2_NS_24const_host_device_scalarIT1_EEPKT4_lPKT5_lS9_PT6_PKS5_21rocsparse_index_base_b, .Lfunc_end56-_ZN9rocsparseL16sddmm_ell_kernelILi512ELi8E21rocsparse_complex_numIdEllS2_S2_S2_EEv20rocsparse_operation_S3_16rocsparse_order_S4_T3_S5_S5_T2_NS_24const_host_device_scalarIT1_EEPKT4_lPKT5_lS9_PT6_PKS5_21rocsparse_index_base_b
                                        ; -- End function
	.section	.AMDGPU.csdata,"",@progbits
; Kernel info:
; codeLenInByte = 2244
; NumSgprs: 30
; NumVgprs: 36
; NumAgprs: 0
; TotalNumVgprs: 36
; ScratchSize: 0
; MemoryBound: 0
; FloatMode: 240
; IeeeMode: 1
; LDSByteSize: 16384 bytes/workgroup (compile time only)
; SGPRBlocks: 3
; VGPRBlocks: 4
; NumSGPRsForWavesPerEU: 30
; NumVGPRsForWavesPerEU: 36
; AccumOffset: 36
; Occupancy: 8
; WaveLimiterHint : 1
; COMPUTE_PGM_RSRC2:SCRATCH_EN: 0
; COMPUTE_PGM_RSRC2:USER_SGPR: 8
; COMPUTE_PGM_RSRC2:TRAP_HANDLER: 0
; COMPUTE_PGM_RSRC2:TGID_X_EN: 1
; COMPUTE_PGM_RSRC2:TGID_Y_EN: 0
; COMPUTE_PGM_RSRC2:TGID_Z_EN: 0
; COMPUTE_PGM_RSRC2:TIDIG_COMP_CNT: 2
; COMPUTE_PGM_RSRC3_GFX90A:ACCUM_OFFSET: 8
; COMPUTE_PGM_RSRC3_GFX90A:TG_SPLIT: 0
	.section	.text._ZN9rocsparseL16sddmm_ell_kernelILi512ELi4E21rocsparse_complex_numIdEllS2_S2_S2_EEv20rocsparse_operation_S3_16rocsparse_order_S4_T3_S5_S5_T2_NS_24const_host_device_scalarIT1_EEPKT4_lPKT5_lS9_PT6_PKS5_21rocsparse_index_base_b,"axG",@progbits,_ZN9rocsparseL16sddmm_ell_kernelILi512ELi4E21rocsparse_complex_numIdEllS2_S2_S2_EEv20rocsparse_operation_S3_16rocsparse_order_S4_T3_S5_S5_T2_NS_24const_host_device_scalarIT1_EEPKT4_lPKT5_lS9_PT6_PKS5_21rocsparse_index_base_b,comdat
	.globl	_ZN9rocsparseL16sddmm_ell_kernelILi512ELi4E21rocsparse_complex_numIdEllS2_S2_S2_EEv20rocsparse_operation_S3_16rocsparse_order_S4_T3_S5_S5_T2_NS_24const_host_device_scalarIT1_EEPKT4_lPKT5_lS9_PT6_PKS5_21rocsparse_index_base_b ; -- Begin function _ZN9rocsparseL16sddmm_ell_kernelILi512ELi4E21rocsparse_complex_numIdEllS2_S2_S2_EEv20rocsparse_operation_S3_16rocsparse_order_S4_T3_S5_S5_T2_NS_24const_host_device_scalarIT1_EEPKT4_lPKT5_lS9_PT6_PKS5_21rocsparse_index_base_b
	.p2align	8
	.type	_ZN9rocsparseL16sddmm_ell_kernelILi512ELi4E21rocsparse_complex_numIdEllS2_S2_S2_EEv20rocsparse_operation_S3_16rocsparse_order_S4_T3_S5_S5_T2_NS_24const_host_device_scalarIT1_EEPKT4_lPKT5_lS9_PT6_PKS5_21rocsparse_index_base_b,@function
_ZN9rocsparseL16sddmm_ell_kernelILi512ELi4E21rocsparse_complex_numIdEllS2_S2_S2_EEv20rocsparse_operation_S3_16rocsparse_order_S4_T3_S5_S5_T2_NS_24const_host_device_scalarIT1_EEPKT4_lPKT5_lS9_PT6_PKS5_21rocsparse_index_base_b: ; @_ZN9rocsparseL16sddmm_ell_kernelILi512ELi4E21rocsparse_complex_numIdEllS2_S2_S2_EEv20rocsparse_operation_S3_16rocsparse_order_S4_T3_S5_S5_T2_NS_24const_host_device_scalarIT1_EEPKT4_lPKT5_lS9_PT6_PKS5_21rocsparse_index_base_b
; %bb.0:
	s_load_dwordx2 s[10:11], s[6:7], 0x80
	s_load_dwordx8 s[12:19], s[6:7], 0x20
	s_load_dwordx4 s[20:23], s[6:7], 0x58
	s_load_dwordx2 s[2:3], s[6:7], 0x68
	s_mov_b64 s[24:25], src_shared_base
	s_load_dwordx2 s[4:5], s[4:5], 0x4
	s_waitcnt lgkmcnt(0)
	s_bitcmp1_b32 s11, 0
	s_cselect_b64 s[0:1], -1, 0
	s_and_b64 vcc, s[0:1], exec
	s_cselect_b32 s9, s25, s17
	s_lshr_b32 s4, s4, 16
	v_and_b32_e32 v14, 0x3ff, v0
	s_mul_i32 s4, s4, s5
	v_mul_lo_u32 v1, s4, v14
	v_bfe_u32 v2, v0, 10, 10
	v_mad_u32_u24 v1, v2, s5, v1
	v_bfe_u32 v0, v0, 20, 10
	v_add_lshl_u32 v6, v1, v0, 3
	v_mov_b32_e32 v4, s16
	v_add_u32_e32 v5, 0x3000, v6
	v_pk_mov_b32 v[0:1], s[16:17], s[16:17] op_sel:[0,1]
	v_pk_mov_b32 v[2:3], s[22:23], s[22:23] op_sel:[0,1]
	ds_write2st64_b64 v6, v[2:3], v[0:1] offset0:16 offset1:24
	v_cndmask_b32_e64 v0, v4, v5, s[0:1]
	v_mov_b32_e32 v1, s9
	flat_load_dwordx2 v[4:5], v[0:1]
	s_xor_b64 s[4:5], s[0:1], -1
	v_add_u32_e32 v0, 0x2000, v6
	v_pk_mov_b32 v[6:7], s[18:19], s[18:19] op_sel:[0,1]
	s_cbranch_vccnz .LBB57_2
; %bb.1:
	v_pk_mov_b32 v[2:3], s[16:17], s[16:17] op_sel:[0,1]
	flat_load_dwordx2 v[6:7], v[2:3] offset:8
.LBB57_2:
	s_and_b64 s[16:17], s[0:1], exec
	s_cselect_b32 s9, s25, s23
	v_mov_b32_e32 v1, s22
	v_cndmask_b32_e64 v0, v1, v0, s[0:1]
	v_mov_b32_e32 v1, s9
	flat_load_dwordx2 v[8:9], v[0:1]
	s_andn2_b64 vcc, exec, s[4:5]
	v_pk_mov_b32 v[10:11], s[2:3], s[2:3] op_sel:[0,1]
	s_cbranch_vccnz .LBB57_4
; %bb.3:
	v_pk_mov_b32 v[0:1], s[22:23], s[22:23] op_sel:[0,1]
	flat_load_dwordx2 v[10:11], v[0:1] offset:8
.LBB57_4:
	s_waitcnt vmcnt(0) lgkmcnt(0)
	v_cmp_eq_f64_e32 vcc, 0, v[4:5]
	v_cmp_eq_f64_e64 s[0:1], 0, v[6:7]
	s_and_b64 s[4:5], vcc, s[0:1]
	s_mov_b64 s[0:1], -1
	s_and_saveexec_b64 s[2:3], s[4:5]
; %bb.5:
	v_cmp_neq_f64_e32 vcc, 1.0, v[8:9]
	v_cmp_neq_f64_e64 s[0:1], 0, v[10:11]
	s_or_b64 s[0:1], vcc, s[0:1]
	s_orn2_b64 s[0:1], s[0:1], exec
; %bb.6:
	s_or_b64 exec, exec, s[2:3]
	s_and_saveexec_b64 s[2:3], s[0:1]
	s_cbranch_execz .LBB57_39
; %bb.7:
	v_lshrrev_b32_e32 v22, 2, v14
	v_lshl_or_b32 v12, s8, 7, v22
	v_mov_b32_e32 v13, 0
	v_cmp_gt_i64_e32 vcc, s[14:15], v[12:13]
	s_and_b64 exec, exec, vcc
	s_cbranch_execz .LBB57_39
; %bb.8:
	s_load_dwordx2 s[8:9], s[6:7], 0x10
	s_load_dwordx2 s[4:5], s[6:7], 0x78
	s_mov_b32 s0, 0
	s_waitcnt lgkmcnt(0)
	s_mov_b32 s1, s9
	s_cmp_lg_u64 s[0:1], 0
	s_cbranch_scc0 .LBB57_16
; %bb.9:
	s_ashr_i32 s0, s9, 31
	s_add_u32 s2, s8, s0
	s_mov_b32 s1, s0
	s_addc_u32 s3, s9, s0
	s_xor_b64 s[16:17], s[2:3], s[0:1]
	v_cvt_f32_u32_e32 v0, s16
	v_cvt_f32_u32_e32 v1, s17
	s_sub_u32 s0, 0, s16
	s_subb_u32 s1, 0, s17
	v_madmk_f32 v0, v1, 0x4f800000, v0
	v_rcp_f32_e32 v0, v0
	v_mul_f32_e32 v0, 0x5f7ffffc, v0
	v_mul_f32_e32 v1, 0x2f800000, v0
	v_trunc_f32_e32 v1, v1
	v_madmk_f32 v0, v1, 0xcf800000, v0
	v_cvt_u32_f32_e32 v1, v1
	v_cvt_u32_f32_e32 v0, v0
	v_mul_lo_u32 v2, s0, v1
	v_mul_hi_u32 v15, s0, v0
	v_mul_lo_u32 v3, s1, v0
	v_add_u32_e32 v2, v15, v2
	v_add_u32_e32 v2, v2, v3
	v_mul_lo_u32 v16, s0, v0
	v_mul_lo_u32 v15, v0, v2
	v_mul_hi_u32 v17, v0, v16
	v_mul_hi_u32 v3, v0, v2
	v_add_co_u32_e32 v15, vcc, v17, v15
	v_addc_co_u32_e32 v3, vcc, 0, v3, vcc
	v_mul_hi_u32 v18, v1, v16
	v_mul_lo_u32 v16, v1, v16
	v_add_co_u32_e32 v15, vcc, v15, v16
	v_mul_hi_u32 v17, v1, v2
	v_addc_co_u32_e32 v3, vcc, v3, v18, vcc
	v_addc_co_u32_e32 v15, vcc, 0, v17, vcc
	v_mul_lo_u32 v2, v1, v2
	v_add_co_u32_e32 v2, vcc, v3, v2
	v_addc_co_u32_e32 v3, vcc, 0, v15, vcc
	v_add_co_u32_e32 v0, vcc, v0, v2
	v_addc_co_u32_e32 v1, vcc, v1, v3, vcc
	v_mul_lo_u32 v2, s0, v1
	v_mul_hi_u32 v3, s0, v0
	v_add_u32_e32 v2, v3, v2
	v_mul_lo_u32 v3, s1, v0
	v_add_u32_e32 v2, v2, v3
	v_mul_lo_u32 v15, s0, v0
	v_mul_hi_u32 v16, v1, v15
	v_mul_lo_u32 v17, v1, v15
	v_mul_lo_u32 v19, v0, v2
	v_mul_hi_u32 v15, v0, v15
	v_mul_hi_u32 v18, v0, v2
	v_add_co_u32_e32 v15, vcc, v15, v19
	v_addc_co_u32_e32 v18, vcc, 0, v18, vcc
	v_add_co_u32_e32 v15, vcc, v15, v17
	v_mul_hi_u32 v3, v1, v2
	v_addc_co_u32_e32 v15, vcc, v18, v16, vcc
	v_addc_co_u32_e32 v3, vcc, 0, v3, vcc
	v_mul_lo_u32 v2, v1, v2
	v_add_co_u32_e32 v2, vcc, v15, v2
	v_addc_co_u32_e32 v3, vcc, 0, v3, vcc
	v_add_co_u32_e32 v2, vcc, v0, v2
	v_addc_co_u32_e32 v3, vcc, v1, v3, vcc
	v_mad_u64_u32 v[0:1], s[0:1], v12, v3, 0
	v_mul_hi_u32 v15, v12, v2
	v_add_co_u32_e32 v15, vcc, v15, v0
	v_addc_co_u32_e32 v16, vcc, 0, v1, vcc
	v_mad_u64_u32 v[0:1], s[0:1], 0, v3, 0
	v_mad_u64_u32 v[2:3], s[0:1], 0, v2, 0
	v_add_co_u32_e32 v2, vcc, v15, v2
	v_addc_co_u32_e32 v2, vcc, v16, v3, vcc
	v_addc_co_u32_e32 v1, vcc, 0, v1, vcc
	v_add_co_u32_e32 v0, vcc, v2, v0
	v_addc_co_u32_e32 v1, vcc, 0, v1, vcc
	v_mul_lo_u32 v2, s17, v0
	v_mul_lo_u32 v3, s16, v1
	v_mad_u64_u32 v[0:1], s[0:1], s16, v0, 0
	v_add3_u32 v1, v1, v3, v2
	v_sub_u32_e32 v2, 0, v1
	v_mov_b32_e32 v3, s17
	v_sub_co_u32_e32 v0, vcc, v12, v0
	v_subb_co_u32_e64 v2, s[0:1], v2, v3, vcc
	v_subrev_co_u32_e64 v15, s[0:1], s16, v0
	v_subbrev_co_u32_e64 v16, s[2:3], 0, v2, s[0:1]
	v_cmp_le_u32_e64 s[2:3], s17, v16
	v_cndmask_b32_e64 v17, 0, -1, s[2:3]
	v_cmp_le_u32_e64 s[2:3], s16, v15
	v_subb_co_u32_e64 v2, s[0:1], v2, v3, s[0:1]
	v_cndmask_b32_e64 v18, 0, -1, s[2:3]
	v_cmp_eq_u32_e64 s[2:3], s17, v16
	v_subrev_co_u32_e64 v3, s[0:1], s16, v15
	v_cndmask_b32_e64 v17, v17, v18, s[2:3]
	v_subbrev_co_u32_e64 v2, s[0:1], 0, v2, s[0:1]
	v_subb_co_u32_e32 v1, vcc, 0, v1, vcc
	v_cmp_ne_u32_e64 s[0:1], 0, v17
	v_cmp_le_u32_e32 vcc, s17, v1
	v_cndmask_b32_e64 v2, v16, v2, s[0:1]
	v_cndmask_b32_e64 v16, 0, -1, vcc
	v_cmp_le_u32_e32 vcc, s16, v0
	v_cndmask_b32_e64 v17, 0, -1, vcc
	v_cmp_eq_u32_e32 vcc, s17, v1
	v_cndmask_b32_e32 v16, v16, v17, vcc
	v_cmp_ne_u32_e32 vcc, 0, v16
	v_cndmask_b32_e32 v1, v1, v2, vcc
	v_cndmask_b32_e64 v2, v15, v3, s[0:1]
	v_cndmask_b32_e32 v0, v0, v2, vcc
	v_subrev_co_u32_e32 v2, vcc, 0, v0
	v_subbrev_co_u32_e32 v3, vcc, 0, v1, vcc
	s_cbranch_execnz .LBB57_11
.LBB57_10:
	v_cvt_f32_u32_e32 v0, s8
	s_sub_i32 s0, 0, s8
	v_mov_b32_e32 v3, 0
	v_rcp_iflag_f32_e32 v0, v0
	v_mul_f32_e32 v0, 0x4f7ffffe, v0
	v_cvt_u32_f32_e32 v0, v0
	v_mul_lo_u32 v1, s0, v0
	v_mul_hi_u32 v1, v0, v1
	v_add_u32_e32 v0, v0, v1
	v_mul_hi_u32 v0, v12, v0
	v_mul_lo_u32 v0, v0, s8
	v_sub_u32_e32 v0, v12, v0
	v_subrev_u32_e32 v1, s8, v0
	v_cmp_le_u32_e32 vcc, s8, v0
	v_cndmask_b32_e32 v0, v0, v1, vcc
	v_subrev_u32_e32 v1, s8, v0
	v_cmp_le_u32_e32 vcc, s8, v0
	v_cndmask_b32_e32 v2, v0, v1, vcc
.LBB57_11:
	v_lshlrev_b64 v[0:1], 3, v[12:13]
	v_mov_b32_e32 v15, s5
	v_add_co_u32_e32 v0, vcc, s4, v0
	v_addc_co_u32_e32 v1, vcc, v15, v1, vcc
	global_load_dwordx2 v[0:1], v[0:1], off
	s_mov_b64 s[16:17], -1
	s_waitcnt vmcnt(0)
	v_subrev_co_u32_e32 v0, vcc, s10, v0
	v_subbrev_co_u32_e32 v1, vcc, 0, v1, vcc
	v_cmp_lt_i64_e32 vcc, -1, v[0:1]
	s_and_b64 exec, exec, vcc
	s_cbranch_execz .LBB57_39
; %bb.12:
	s_load_dwordx4 s[0:3], s[6:7], 0x0
	s_load_dwordx2 s[4:5], s[6:7], 0x48
	s_waitcnt lgkmcnt(0)
	s_cmp_eq_u32 s2, 1
	s_cselect_b64 s[8:9], -1, 0
	s_cmpk_eq_i32 s0, 0x6f
	s_cselect_b64 s[10:11], -1, 0
	s_cmpk_lg_i32 s0, 0x6f
	s_cselect_b64 s[14:15], -1, 0
	s_cmp_lg_u32 s2, 1
	s_cbranch_scc0 .LBB57_17
; %bb.13:
	s_andn2_b64 vcc, exec, s[10:11]
	v_pk_mov_b32 v[16:17], v[2:3], v[2:3] op_sel:[0,1]
	s_cbranch_vccnz .LBB57_15
; %bb.14:
	v_mul_lo_u32 v15, v3, s4
	v_mul_lo_u32 v18, v2, s5
	v_mad_u64_u32 v[16:17], s[16:17], v2, s4, 0
	v_add3_u32 v17, v17, v18, v15
.LBB57_15:
	s_cbranch_execz .LBB57_18
	s_branch .LBB57_21
.LBB57_16:
                                        ; implicit-def: $vgpr2_vgpr3
	s_branch .LBB57_10
.LBB57_17:
                                        ; implicit-def: $vgpr16_vgpr17
	s_andn2_b64 vcc, exec, s[16:17]
	s_cbranch_vccnz .LBB57_21
.LBB57_18:
	s_andn2_b64 vcc, exec, s[14:15]
	s_cbranch_vccnz .LBB57_20
; %bb.19:
	v_mul_lo_u32 v15, v3, s4
	v_mul_lo_u32 v16, v2, s5
	v_mad_u64_u32 v[2:3], s[14:15], v2, s4, 0
	v_add3_u32 v3, v3, v16, v15
.LBB57_20:
	v_pk_mov_b32 v[16:17], v[2:3], v[2:3] op_sel:[0,1]
.LBB57_21:
	s_cmp_eq_u32 s3, 1
	s_cselect_b64 s[14:15], -1, 0
	s_cmpk_eq_i32 s1, 0x6f
	s_cselect_b64 s[16:17], -1, 0
	s_cmpk_lg_i32 s1, 0x6f
	s_cselect_b64 s[0:1], -1, 0
	s_cmp_lg_u32 s3, 1
	s_cbranch_scc0 .LBB57_25
; %bb.22:
	s_andn2_b64 vcc, exec, s[0:1]
	v_pk_mov_b32 v[18:19], v[0:1], v[0:1] op_sel:[0,1]
	s_cbranch_vccnz .LBB57_24
; %bb.23:
	v_mul_lo_u32 v2, v1, s20
	v_mul_lo_u32 v3, v0, s21
	v_mad_u64_u32 v[18:19], s[0:1], v0, s20, 0
	v_add3_u32 v19, v19, v3, v2
.LBB57_24:
	s_cbranch_execz .LBB57_26
	s_branch .LBB57_29
.LBB57_25:
                                        ; implicit-def: $vgpr18_vgpr19
.LBB57_26:
	s_andn2_b64 vcc, exec, s[16:17]
	s_cbranch_vccnz .LBB57_28
; %bb.27:
	v_mul_lo_u32 v2, v1, s20
	v_mul_lo_u32 v3, v0, s21
	v_mad_u64_u32 v[0:1], s[0:1], v0, s20, 0
	v_add3_u32 v1, v1, v3, v2
.LBB57_28:
	v_pk_mov_b32 v[18:19], v[0:1], v[0:1] op_sel:[0,1]
.LBB57_29:
	s_load_dwordx2 s[0:1], s[6:7], 0x70
	v_and_b32_e32 v14, 3, v14
	v_mov_b32_e32 v15, 0
	v_pk_mov_b32 v[2:3], 0, 0
	v_cmp_gt_i64_e32 vcc, s[12:13], v[14:15]
	v_pk_mov_b32 v[0:1], v[2:3], v[2:3] op_sel:[0,1]
	s_and_saveexec_b64 s[2:3], vcc
	s_cbranch_execz .LBB57_33
; %bb.30:
	s_load_dwordx2 s[18:19], s[6:7], 0x40
	s_load_dwordx2 s[22:23], s[6:7], 0x50
	s_xor_b64 s[6:7], s[10:11], s[8:9]
	s_and_b64 s[6:7], s[6:7], exec
	s_cselect_b32 s4, 1, s4
	v_mad_u64_u32 v[0:1], s[8:9], s4, v14, 0
	s_cselect_b32 s5, 0, s5
	v_mov_b32_e32 v2, v1
	v_mad_u64_u32 v[2:3], s[8:9], s5, v14, v[2:3]
	v_mov_b32_e32 v1, v2
	v_lshlrev_b64 v[0:1], 4, v[0:1]
	v_lshlrev_b64 v[2:3], 4, v[16:17]
	v_add_co_u32_e32 v0, vcc, v0, v2
	v_addc_co_u32_e32 v1, vcc, v1, v3, vcc
	s_xor_b64 s[6:7], s[16:17], s[14:15]
	s_waitcnt lgkmcnt(0)
	v_mov_b32_e32 v2, s19
	v_add_co_u32_e32 v0, vcc, s18, v0
	s_and_b64 s[6:7], s[6:7], exec
	v_addc_co_u32_e32 v1, vcc, v1, v2, vcc
	s_cselect_b32 s6, s20, 1
	v_add_co_u32_e32 v16, vcc, 8, v0
	v_addc_co_u32_e32 v17, vcc, 0, v1, vcc
	v_mad_u64_u32 v[0:1], s[8:9], s6, v14, 0
	s_cselect_b32 s7, s21, 0
	v_mov_b32_e32 v2, v1
	v_mad_u64_u32 v[2:3], s[8:9], s7, v14, v[2:3]
	v_mov_b32_e32 v1, v2
	v_lshlrev_b64 v[0:1], 4, v[0:1]
	v_lshlrev_b64 v[2:3], 4, v[18:19]
	v_add_co_u32_e32 v0, vcc, v0, v2
	v_addc_co_u32_e32 v1, vcc, v1, v3, vcc
	v_mov_b32_e32 v2, s23
	v_add_co_u32_e32 v0, vcc, s22, v0
	v_addc_co_u32_e32 v1, vcc, v1, v2, vcc
	s_lshl_b64 s[4:5], s[4:5], 6
	v_add_co_u32_e32 v18, vcc, 8, v0
	s_lshl_b64 s[8:9], s[6:7], 6
	v_pk_mov_b32 v[2:3], 0, 0
	v_addc_co_u32_e32 v19, vcc, 0, v1, vcc
	s_mov_b64 s[6:7], 0
	v_mov_b32_e32 v23, s5
	v_mov_b32_e32 v24, s9
	v_pk_mov_b32 v[20:21], v[14:15], v[14:15] op_sel:[0,1]
	v_pk_mov_b32 v[0:1], v[2:3], v[2:3] op_sel:[0,1]
.LBB57_31:                              ; =>This Inner Loop Header: Depth=1
	global_load_dwordx4 v[26:29], v[18:19], off offset:-8
	global_load_dwordx4 v[30:33], v[16:17], off offset:-8
	v_add_co_u32_e32 v20, vcc, 4, v20
	v_addc_co_u32_e32 v21, vcc, 0, v21, vcc
	v_add_co_u32_e32 v16, vcc, s4, v16
	v_addc_co_u32_e32 v17, vcc, v17, v23, vcc
	;; [unrolled: 2-line block ×3, first 2 shown]
	v_cmp_le_i64_e32 vcc, s[12:13], v[20:21]
	s_or_b64 s[6:7], vcc, s[6:7]
	s_waitcnt vmcnt(0)
	v_mul_f64 v[34:35], v[28:29], -v[32:33]
	v_mul_f64 v[28:29], v[28:29], v[30:31]
	v_fmac_f64_e32 v[34:35], v[30:31], v[26:27]
	v_fmac_f64_e32 v[28:29], v[32:33], v[26:27]
	v_add_f64 v[0:1], v[0:1], v[34:35]
	v_add_f64 v[2:3], v[2:3], v[28:29]
	s_andn2_b64 exec, exec, s[6:7]
	s_cbranch_execnz .LBB57_31
; %bb.32:
	s_or_b64 exec, exec, s[6:7]
.LBB57_33:
	s_or_b64 exec, exec, s[2:3]
	v_lshlrev_b32_e32 v15, 4, v14
	v_lshl_or_b32 v15, v22, 6, v15
	v_cmp_gt_u32_e32 vcc, 2, v14
	ds_write_b128 v15, v[0:3]
	s_waitcnt lgkmcnt(0)
	s_barrier
	s_and_saveexec_b64 s[2:3], vcc
	s_cbranch_execz .LBB57_35
; %bb.34:
	ds_read_b128 v[0:3], v15
	ds_read_b128 v[16:19], v15 offset:32
	s_waitcnt lgkmcnt(0)
	v_add_f64 v[0:1], v[16:17], v[0:1]
	v_add_f64 v[2:3], v[18:19], v[2:3]
	ds_write_b128 v15, v[0:3]
.LBB57_35:
	s_or_b64 exec, exec, s[2:3]
	v_cmp_eq_u32_e32 vcc, 0, v14
	v_lshlrev_b32_e32 v0, 6, v22
	s_waitcnt lgkmcnt(0)
	s_barrier
	s_and_saveexec_b64 s[2:3], vcc
	s_cbranch_execz .LBB57_37
; %bb.36:
	ds_read_b128 v[16:19], v0 offset:16
	ds_read_b128 v[20:23], v15
	s_waitcnt lgkmcnt(0)
	v_add_f64 v[16:17], v[16:17], v[20:21]
	v_add_f64 v[18:19], v[18:19], v[22:23]
	ds_write_b128 v15, v[16:19]
.LBB57_37:
	s_or_b64 exec, exec, s[2:3]
	s_waitcnt lgkmcnt(0)
	s_barrier
	s_and_b64 exec, exec, vcc
	s_cbranch_execz .LBB57_39
; %bb.38:
	v_lshlrev_b64 v[2:3], 4, v[12:13]
	v_mov_b32_e32 v1, s1
	v_add_co_u32_e32 v16, vcc, s0, v2
	v_addc_co_u32_e32 v17, vcc, v1, v3, vcc
	global_load_dwordx4 v[12:15], v[16:17], off
	ds_read_b128 v[0:3], v0
	s_waitcnt lgkmcnt(0)
	v_mul_f64 v[18:19], v[2:3], -v[6:7]
	v_mul_f64 v[2:3], v[4:5], v[2:3]
	v_fmac_f64_e32 v[18:19], v[4:5], v[0:1]
	v_fmac_f64_e32 v[2:3], v[6:7], v[0:1]
	s_waitcnt vmcnt(0)
	v_mul_f64 v[0:1], v[10:11], -v[14:15]
	v_mul_f64 v[4:5], v[10:11], v[12:13]
	v_fmac_f64_e32 v[0:1], v[12:13], v[8:9]
	v_fmac_f64_e32 v[4:5], v[14:15], v[8:9]
	v_add_f64 v[0:1], v[0:1], v[18:19]
	v_add_f64 v[2:3], v[4:5], v[2:3]
	global_store_dwordx4 v[16:17], v[0:3], off
.LBB57_39:
	s_endpgm
	.section	.rodata,"a",@progbits
	.p2align	6, 0x0
	.amdhsa_kernel _ZN9rocsparseL16sddmm_ell_kernelILi512ELi4E21rocsparse_complex_numIdEllS2_S2_S2_EEv20rocsparse_operation_S3_16rocsparse_order_S4_T3_S5_S5_T2_NS_24const_host_device_scalarIT1_EEPKT4_lPKT5_lS9_PT6_PKS5_21rocsparse_index_base_b
		.amdhsa_group_segment_fixed_size 16384
		.amdhsa_private_segment_fixed_size 0
		.amdhsa_kernarg_size 136
		.amdhsa_user_sgpr_count 8
		.amdhsa_user_sgpr_private_segment_buffer 1
		.amdhsa_user_sgpr_dispatch_ptr 1
		.amdhsa_user_sgpr_queue_ptr 0
		.amdhsa_user_sgpr_kernarg_segment_ptr 1
		.amdhsa_user_sgpr_dispatch_id 0
		.amdhsa_user_sgpr_flat_scratch_init 0
		.amdhsa_user_sgpr_kernarg_preload_length 0
		.amdhsa_user_sgpr_kernarg_preload_offset 0
		.amdhsa_user_sgpr_private_segment_size 0
		.amdhsa_uses_dynamic_stack 0
		.amdhsa_system_sgpr_private_segment_wavefront_offset 0
		.amdhsa_system_sgpr_workgroup_id_x 1
		.amdhsa_system_sgpr_workgroup_id_y 0
		.amdhsa_system_sgpr_workgroup_id_z 0
		.amdhsa_system_sgpr_workgroup_info 0
		.amdhsa_system_vgpr_workitem_id 2
		.amdhsa_next_free_vgpr 36
		.amdhsa_next_free_sgpr 26
		.amdhsa_accum_offset 36
		.amdhsa_reserve_vcc 1
		.amdhsa_reserve_flat_scratch 0
		.amdhsa_float_round_mode_32 0
		.amdhsa_float_round_mode_16_64 0
		.amdhsa_float_denorm_mode_32 3
		.amdhsa_float_denorm_mode_16_64 3
		.amdhsa_dx10_clamp 1
		.amdhsa_ieee_mode 1
		.amdhsa_fp16_overflow 0
		.amdhsa_tg_split 0
		.amdhsa_exception_fp_ieee_invalid_op 0
		.amdhsa_exception_fp_denorm_src 0
		.amdhsa_exception_fp_ieee_div_zero 0
		.amdhsa_exception_fp_ieee_overflow 0
		.amdhsa_exception_fp_ieee_underflow 0
		.amdhsa_exception_fp_ieee_inexact 0
		.amdhsa_exception_int_div_zero 0
	.end_amdhsa_kernel
	.section	.text._ZN9rocsparseL16sddmm_ell_kernelILi512ELi4E21rocsparse_complex_numIdEllS2_S2_S2_EEv20rocsparse_operation_S3_16rocsparse_order_S4_T3_S5_S5_T2_NS_24const_host_device_scalarIT1_EEPKT4_lPKT5_lS9_PT6_PKS5_21rocsparse_index_base_b,"axG",@progbits,_ZN9rocsparseL16sddmm_ell_kernelILi512ELi4E21rocsparse_complex_numIdEllS2_S2_S2_EEv20rocsparse_operation_S3_16rocsparse_order_S4_T3_S5_S5_T2_NS_24const_host_device_scalarIT1_EEPKT4_lPKT5_lS9_PT6_PKS5_21rocsparse_index_base_b,comdat
.Lfunc_end57:
	.size	_ZN9rocsparseL16sddmm_ell_kernelILi512ELi4E21rocsparse_complex_numIdEllS2_S2_S2_EEv20rocsparse_operation_S3_16rocsparse_order_S4_T3_S5_S5_T2_NS_24const_host_device_scalarIT1_EEPKT4_lPKT5_lS9_PT6_PKS5_21rocsparse_index_base_b, .Lfunc_end57-_ZN9rocsparseL16sddmm_ell_kernelILi512ELi4E21rocsparse_complex_numIdEllS2_S2_S2_EEv20rocsparse_operation_S3_16rocsparse_order_S4_T3_S5_S5_T2_NS_24const_host_device_scalarIT1_EEPKT4_lPKT5_lS9_PT6_PKS5_21rocsparse_index_base_b
                                        ; -- End function
	.section	.AMDGPU.csdata,"",@progbits
; Kernel info:
; codeLenInByte = 2176
; NumSgprs: 30
; NumVgprs: 36
; NumAgprs: 0
; TotalNumVgprs: 36
; ScratchSize: 0
; MemoryBound: 0
; FloatMode: 240
; IeeeMode: 1
; LDSByteSize: 16384 bytes/workgroup (compile time only)
; SGPRBlocks: 3
; VGPRBlocks: 4
; NumSGPRsForWavesPerEU: 30
; NumVGPRsForWavesPerEU: 36
; AccumOffset: 36
; Occupancy: 8
; WaveLimiterHint : 1
; COMPUTE_PGM_RSRC2:SCRATCH_EN: 0
; COMPUTE_PGM_RSRC2:USER_SGPR: 8
; COMPUTE_PGM_RSRC2:TRAP_HANDLER: 0
; COMPUTE_PGM_RSRC2:TGID_X_EN: 1
; COMPUTE_PGM_RSRC2:TGID_Y_EN: 0
; COMPUTE_PGM_RSRC2:TGID_Z_EN: 0
; COMPUTE_PGM_RSRC2:TIDIG_COMP_CNT: 2
; COMPUTE_PGM_RSRC3_GFX90A:ACCUM_OFFSET: 8
; COMPUTE_PGM_RSRC3_GFX90A:TG_SPLIT: 0
	.section	.text._ZN9rocsparseL16sddmm_ell_kernelILi512ELi2E21rocsparse_complex_numIdEllS2_S2_S2_EEv20rocsparse_operation_S3_16rocsparse_order_S4_T3_S5_S5_T2_NS_24const_host_device_scalarIT1_EEPKT4_lPKT5_lS9_PT6_PKS5_21rocsparse_index_base_b,"axG",@progbits,_ZN9rocsparseL16sddmm_ell_kernelILi512ELi2E21rocsparse_complex_numIdEllS2_S2_S2_EEv20rocsparse_operation_S3_16rocsparse_order_S4_T3_S5_S5_T2_NS_24const_host_device_scalarIT1_EEPKT4_lPKT5_lS9_PT6_PKS5_21rocsparse_index_base_b,comdat
	.globl	_ZN9rocsparseL16sddmm_ell_kernelILi512ELi2E21rocsparse_complex_numIdEllS2_S2_S2_EEv20rocsparse_operation_S3_16rocsparse_order_S4_T3_S5_S5_T2_NS_24const_host_device_scalarIT1_EEPKT4_lPKT5_lS9_PT6_PKS5_21rocsparse_index_base_b ; -- Begin function _ZN9rocsparseL16sddmm_ell_kernelILi512ELi2E21rocsparse_complex_numIdEllS2_S2_S2_EEv20rocsparse_operation_S3_16rocsparse_order_S4_T3_S5_S5_T2_NS_24const_host_device_scalarIT1_EEPKT4_lPKT5_lS9_PT6_PKS5_21rocsparse_index_base_b
	.p2align	8
	.type	_ZN9rocsparseL16sddmm_ell_kernelILi512ELi2E21rocsparse_complex_numIdEllS2_S2_S2_EEv20rocsparse_operation_S3_16rocsparse_order_S4_T3_S5_S5_T2_NS_24const_host_device_scalarIT1_EEPKT4_lPKT5_lS9_PT6_PKS5_21rocsparse_index_base_b,@function
_ZN9rocsparseL16sddmm_ell_kernelILi512ELi2E21rocsparse_complex_numIdEllS2_S2_S2_EEv20rocsparse_operation_S3_16rocsparse_order_S4_T3_S5_S5_T2_NS_24const_host_device_scalarIT1_EEPKT4_lPKT5_lS9_PT6_PKS5_21rocsparse_index_base_b: ; @_ZN9rocsparseL16sddmm_ell_kernelILi512ELi2E21rocsparse_complex_numIdEllS2_S2_S2_EEv20rocsparse_operation_S3_16rocsparse_order_S4_T3_S5_S5_T2_NS_24const_host_device_scalarIT1_EEPKT4_lPKT5_lS9_PT6_PKS5_21rocsparse_index_base_b
; %bb.0:
	s_load_dwordx2 s[10:11], s[6:7], 0x80
	s_load_dwordx8 s[12:19], s[6:7], 0x20
	s_load_dwordx4 s[20:23], s[6:7], 0x58
	s_load_dwordx2 s[2:3], s[6:7], 0x68
	s_mov_b64 s[24:25], src_shared_base
	s_load_dwordx2 s[4:5], s[4:5], 0x4
	s_waitcnt lgkmcnt(0)
	s_bitcmp1_b32 s11, 0
	s_cselect_b64 s[0:1], -1, 0
	s_and_b64 vcc, s[0:1], exec
	s_cselect_b32 s9, s25, s17
	s_lshr_b32 s4, s4, 16
	v_and_b32_e32 v14, 0x3ff, v0
	s_mul_i32 s4, s4, s5
	v_mul_lo_u32 v1, s4, v14
	v_bfe_u32 v2, v0, 10, 10
	v_mad_u32_u24 v1, v2, s5, v1
	v_bfe_u32 v0, v0, 20, 10
	v_add_lshl_u32 v6, v1, v0, 3
	v_mov_b32_e32 v4, s16
	v_add_u32_e32 v5, 0x3000, v6
	v_pk_mov_b32 v[0:1], s[16:17], s[16:17] op_sel:[0,1]
	v_pk_mov_b32 v[2:3], s[22:23], s[22:23] op_sel:[0,1]
	ds_write2st64_b64 v6, v[2:3], v[0:1] offset0:16 offset1:24
	v_cndmask_b32_e64 v0, v4, v5, s[0:1]
	v_mov_b32_e32 v1, s9
	flat_load_dwordx2 v[4:5], v[0:1]
	s_xor_b64 s[4:5], s[0:1], -1
	v_add_u32_e32 v0, 0x2000, v6
	v_pk_mov_b32 v[6:7], s[18:19], s[18:19] op_sel:[0,1]
	s_cbranch_vccnz .LBB58_2
; %bb.1:
	v_pk_mov_b32 v[2:3], s[16:17], s[16:17] op_sel:[0,1]
	flat_load_dwordx2 v[6:7], v[2:3] offset:8
.LBB58_2:
	s_and_b64 s[16:17], s[0:1], exec
	s_cselect_b32 s9, s25, s23
	v_mov_b32_e32 v1, s22
	v_cndmask_b32_e64 v0, v1, v0, s[0:1]
	v_mov_b32_e32 v1, s9
	flat_load_dwordx2 v[8:9], v[0:1]
	s_andn2_b64 vcc, exec, s[4:5]
	v_pk_mov_b32 v[10:11], s[2:3], s[2:3] op_sel:[0,1]
	s_cbranch_vccnz .LBB58_4
; %bb.3:
	v_pk_mov_b32 v[0:1], s[22:23], s[22:23] op_sel:[0,1]
	flat_load_dwordx2 v[10:11], v[0:1] offset:8
.LBB58_4:
	s_waitcnt vmcnt(0) lgkmcnt(0)
	v_cmp_eq_f64_e32 vcc, 0, v[4:5]
	v_cmp_eq_f64_e64 s[0:1], 0, v[6:7]
	s_and_b64 s[4:5], vcc, s[0:1]
	s_mov_b64 s[0:1], -1
	s_and_saveexec_b64 s[2:3], s[4:5]
; %bb.5:
	v_cmp_neq_f64_e32 vcc, 1.0, v[8:9]
	v_cmp_neq_f64_e64 s[0:1], 0, v[10:11]
	s_or_b64 s[0:1], vcc, s[0:1]
	s_orn2_b64 s[0:1], s[0:1], exec
; %bb.6:
	s_or_b64 exec, exec, s[2:3]
	s_and_saveexec_b64 s[2:3], s[0:1]
	s_cbranch_execz .LBB58_37
; %bb.7:
	v_lshrrev_b32_e32 v22, 1, v14
	v_lshl_or_b32 v12, s8, 8, v22
	v_mov_b32_e32 v13, 0
	v_cmp_gt_i64_e32 vcc, s[14:15], v[12:13]
	s_and_b64 exec, exec, vcc
	s_cbranch_execz .LBB58_37
; %bb.8:
	s_load_dwordx2 s[8:9], s[6:7], 0x10
	s_load_dwordx2 s[4:5], s[6:7], 0x78
	s_mov_b32 s0, 0
	s_waitcnt lgkmcnt(0)
	s_mov_b32 s1, s9
	s_cmp_lg_u64 s[0:1], 0
	s_cbranch_scc0 .LBB58_16
; %bb.9:
	s_ashr_i32 s0, s9, 31
	s_add_u32 s2, s8, s0
	s_mov_b32 s1, s0
	s_addc_u32 s3, s9, s0
	s_xor_b64 s[16:17], s[2:3], s[0:1]
	v_cvt_f32_u32_e32 v0, s16
	v_cvt_f32_u32_e32 v1, s17
	s_sub_u32 s0, 0, s16
	s_subb_u32 s1, 0, s17
	v_madmk_f32 v0, v1, 0x4f800000, v0
	v_rcp_f32_e32 v0, v0
	v_mul_f32_e32 v0, 0x5f7ffffc, v0
	v_mul_f32_e32 v1, 0x2f800000, v0
	v_trunc_f32_e32 v1, v1
	v_madmk_f32 v0, v1, 0xcf800000, v0
	v_cvt_u32_f32_e32 v1, v1
	v_cvt_u32_f32_e32 v0, v0
	v_mul_lo_u32 v2, s0, v1
	v_mul_hi_u32 v15, s0, v0
	v_mul_lo_u32 v3, s1, v0
	v_add_u32_e32 v2, v15, v2
	v_add_u32_e32 v2, v2, v3
	v_mul_lo_u32 v16, s0, v0
	v_mul_lo_u32 v15, v0, v2
	v_mul_hi_u32 v17, v0, v16
	v_mul_hi_u32 v3, v0, v2
	v_add_co_u32_e32 v15, vcc, v17, v15
	v_addc_co_u32_e32 v3, vcc, 0, v3, vcc
	v_mul_hi_u32 v18, v1, v16
	v_mul_lo_u32 v16, v1, v16
	v_add_co_u32_e32 v15, vcc, v15, v16
	v_mul_hi_u32 v17, v1, v2
	v_addc_co_u32_e32 v3, vcc, v3, v18, vcc
	v_addc_co_u32_e32 v15, vcc, 0, v17, vcc
	v_mul_lo_u32 v2, v1, v2
	v_add_co_u32_e32 v2, vcc, v3, v2
	v_addc_co_u32_e32 v3, vcc, 0, v15, vcc
	v_add_co_u32_e32 v0, vcc, v0, v2
	v_addc_co_u32_e32 v1, vcc, v1, v3, vcc
	v_mul_lo_u32 v2, s0, v1
	v_mul_hi_u32 v3, s0, v0
	v_add_u32_e32 v2, v3, v2
	v_mul_lo_u32 v3, s1, v0
	v_add_u32_e32 v2, v2, v3
	v_mul_lo_u32 v15, s0, v0
	v_mul_hi_u32 v16, v1, v15
	v_mul_lo_u32 v17, v1, v15
	v_mul_lo_u32 v19, v0, v2
	v_mul_hi_u32 v15, v0, v15
	v_mul_hi_u32 v18, v0, v2
	v_add_co_u32_e32 v15, vcc, v15, v19
	v_addc_co_u32_e32 v18, vcc, 0, v18, vcc
	v_add_co_u32_e32 v15, vcc, v15, v17
	v_mul_hi_u32 v3, v1, v2
	v_addc_co_u32_e32 v15, vcc, v18, v16, vcc
	v_addc_co_u32_e32 v3, vcc, 0, v3, vcc
	v_mul_lo_u32 v2, v1, v2
	v_add_co_u32_e32 v2, vcc, v15, v2
	v_addc_co_u32_e32 v3, vcc, 0, v3, vcc
	v_add_co_u32_e32 v2, vcc, v0, v2
	v_addc_co_u32_e32 v3, vcc, v1, v3, vcc
	v_mad_u64_u32 v[0:1], s[0:1], v12, v3, 0
	v_mul_hi_u32 v15, v12, v2
	v_add_co_u32_e32 v15, vcc, v15, v0
	v_addc_co_u32_e32 v16, vcc, 0, v1, vcc
	v_mad_u64_u32 v[0:1], s[0:1], 0, v3, 0
	v_mad_u64_u32 v[2:3], s[0:1], 0, v2, 0
	v_add_co_u32_e32 v2, vcc, v15, v2
	v_addc_co_u32_e32 v2, vcc, v16, v3, vcc
	v_addc_co_u32_e32 v1, vcc, 0, v1, vcc
	v_add_co_u32_e32 v0, vcc, v2, v0
	v_addc_co_u32_e32 v1, vcc, 0, v1, vcc
	v_mul_lo_u32 v2, s17, v0
	v_mul_lo_u32 v3, s16, v1
	v_mad_u64_u32 v[0:1], s[0:1], s16, v0, 0
	v_add3_u32 v1, v1, v3, v2
	v_sub_u32_e32 v2, 0, v1
	v_mov_b32_e32 v3, s17
	v_sub_co_u32_e32 v0, vcc, v12, v0
	v_subb_co_u32_e64 v2, s[0:1], v2, v3, vcc
	v_subrev_co_u32_e64 v15, s[0:1], s16, v0
	v_subbrev_co_u32_e64 v16, s[2:3], 0, v2, s[0:1]
	v_cmp_le_u32_e64 s[2:3], s17, v16
	v_cndmask_b32_e64 v17, 0, -1, s[2:3]
	v_cmp_le_u32_e64 s[2:3], s16, v15
	v_subb_co_u32_e64 v2, s[0:1], v2, v3, s[0:1]
	v_cndmask_b32_e64 v18, 0, -1, s[2:3]
	v_cmp_eq_u32_e64 s[2:3], s17, v16
	v_subrev_co_u32_e64 v3, s[0:1], s16, v15
	v_cndmask_b32_e64 v17, v17, v18, s[2:3]
	v_subbrev_co_u32_e64 v2, s[0:1], 0, v2, s[0:1]
	v_subb_co_u32_e32 v1, vcc, 0, v1, vcc
	v_cmp_ne_u32_e64 s[0:1], 0, v17
	v_cmp_le_u32_e32 vcc, s17, v1
	v_cndmask_b32_e64 v2, v16, v2, s[0:1]
	v_cndmask_b32_e64 v16, 0, -1, vcc
	v_cmp_le_u32_e32 vcc, s16, v0
	v_cndmask_b32_e64 v17, 0, -1, vcc
	v_cmp_eq_u32_e32 vcc, s17, v1
	v_cndmask_b32_e32 v16, v16, v17, vcc
	v_cmp_ne_u32_e32 vcc, 0, v16
	v_cndmask_b32_e32 v1, v1, v2, vcc
	v_cndmask_b32_e64 v2, v15, v3, s[0:1]
	v_cndmask_b32_e32 v0, v0, v2, vcc
	v_subrev_co_u32_e32 v2, vcc, 0, v0
	v_subbrev_co_u32_e32 v3, vcc, 0, v1, vcc
	s_cbranch_execnz .LBB58_11
.LBB58_10:
	v_cvt_f32_u32_e32 v0, s8
	s_sub_i32 s0, 0, s8
	v_mov_b32_e32 v3, 0
	v_rcp_iflag_f32_e32 v0, v0
	v_mul_f32_e32 v0, 0x4f7ffffe, v0
	v_cvt_u32_f32_e32 v0, v0
	v_mul_lo_u32 v1, s0, v0
	v_mul_hi_u32 v1, v0, v1
	v_add_u32_e32 v0, v0, v1
	v_mul_hi_u32 v0, v12, v0
	v_mul_lo_u32 v0, v0, s8
	v_sub_u32_e32 v0, v12, v0
	v_subrev_u32_e32 v1, s8, v0
	v_cmp_le_u32_e32 vcc, s8, v0
	v_cndmask_b32_e32 v0, v0, v1, vcc
	v_subrev_u32_e32 v1, s8, v0
	v_cmp_le_u32_e32 vcc, s8, v0
	v_cndmask_b32_e32 v2, v0, v1, vcc
.LBB58_11:
	v_lshlrev_b64 v[0:1], 3, v[12:13]
	v_mov_b32_e32 v15, s5
	v_add_co_u32_e32 v0, vcc, s4, v0
	v_addc_co_u32_e32 v1, vcc, v15, v1, vcc
	global_load_dwordx2 v[0:1], v[0:1], off
	s_mov_b64 s[16:17], -1
	s_waitcnt vmcnt(0)
	v_subrev_co_u32_e32 v0, vcc, s10, v0
	v_subbrev_co_u32_e32 v1, vcc, 0, v1, vcc
	v_cmp_lt_i64_e32 vcc, -1, v[0:1]
	s_and_b64 exec, exec, vcc
	s_cbranch_execz .LBB58_37
; %bb.12:
	s_load_dwordx4 s[0:3], s[6:7], 0x0
	s_load_dwordx2 s[4:5], s[6:7], 0x48
	s_waitcnt lgkmcnt(0)
	s_cmp_eq_u32 s2, 1
	s_cselect_b64 s[8:9], -1, 0
	s_cmpk_eq_i32 s0, 0x6f
	s_cselect_b64 s[10:11], -1, 0
	s_cmpk_lg_i32 s0, 0x6f
	s_cselect_b64 s[14:15], -1, 0
	s_cmp_lg_u32 s2, 1
	s_cbranch_scc0 .LBB58_17
; %bb.13:
	s_andn2_b64 vcc, exec, s[10:11]
	v_pk_mov_b32 v[16:17], v[2:3], v[2:3] op_sel:[0,1]
	s_cbranch_vccnz .LBB58_15
; %bb.14:
	v_mul_lo_u32 v15, v3, s4
	v_mul_lo_u32 v18, v2, s5
	v_mad_u64_u32 v[16:17], s[16:17], v2, s4, 0
	v_add3_u32 v17, v17, v18, v15
.LBB58_15:
	s_cbranch_execz .LBB58_18
	s_branch .LBB58_21
.LBB58_16:
                                        ; implicit-def: $vgpr2_vgpr3
	s_branch .LBB58_10
.LBB58_17:
                                        ; implicit-def: $vgpr16_vgpr17
	s_andn2_b64 vcc, exec, s[16:17]
	s_cbranch_vccnz .LBB58_21
.LBB58_18:
	s_andn2_b64 vcc, exec, s[14:15]
	s_cbranch_vccnz .LBB58_20
; %bb.19:
	v_mul_lo_u32 v15, v3, s4
	v_mul_lo_u32 v16, v2, s5
	v_mad_u64_u32 v[2:3], s[14:15], v2, s4, 0
	v_add3_u32 v3, v3, v16, v15
.LBB58_20:
	v_pk_mov_b32 v[16:17], v[2:3], v[2:3] op_sel:[0,1]
.LBB58_21:
	s_cmp_eq_u32 s3, 1
	s_cselect_b64 s[14:15], -1, 0
	s_cmpk_eq_i32 s1, 0x6f
	s_cselect_b64 s[16:17], -1, 0
	s_cmpk_lg_i32 s1, 0x6f
	s_cselect_b64 s[0:1], -1, 0
	s_cmp_lg_u32 s3, 1
	s_cbranch_scc0 .LBB58_25
; %bb.22:
	s_andn2_b64 vcc, exec, s[0:1]
	v_pk_mov_b32 v[18:19], v[0:1], v[0:1] op_sel:[0,1]
	s_cbranch_vccnz .LBB58_24
; %bb.23:
	v_mul_lo_u32 v2, v1, s20
	v_mul_lo_u32 v3, v0, s21
	v_mad_u64_u32 v[18:19], s[0:1], v0, s20, 0
	v_add3_u32 v19, v19, v3, v2
.LBB58_24:
	s_cbranch_execz .LBB58_26
	s_branch .LBB58_29
.LBB58_25:
                                        ; implicit-def: $vgpr18_vgpr19
.LBB58_26:
	s_andn2_b64 vcc, exec, s[16:17]
	s_cbranch_vccnz .LBB58_28
; %bb.27:
	v_mul_lo_u32 v2, v1, s20
	v_mul_lo_u32 v3, v0, s21
	v_mad_u64_u32 v[0:1], s[0:1], v0, s20, 0
	v_add3_u32 v1, v1, v3, v2
.LBB58_28:
	v_pk_mov_b32 v[18:19], v[0:1], v[0:1] op_sel:[0,1]
.LBB58_29:
	s_load_dwordx2 s[0:1], s[6:7], 0x70
	v_and_b32_e32 v14, 1, v14
	v_mov_b32_e32 v15, 0
	v_pk_mov_b32 v[2:3], 0, 0
	v_cmp_gt_i64_e32 vcc, s[12:13], v[14:15]
	v_pk_mov_b32 v[0:1], v[2:3], v[2:3] op_sel:[0,1]
	s_and_saveexec_b64 s[2:3], vcc
	s_cbranch_execz .LBB58_33
; %bb.30:
	s_load_dwordx2 s[18:19], s[6:7], 0x40
	s_load_dwordx2 s[22:23], s[6:7], 0x50
	s_xor_b64 s[6:7], s[10:11], s[8:9]
	s_and_b64 s[6:7], s[6:7], exec
	s_cselect_b32 s5, 0, s5
	s_cselect_b32 s4, 1, s4
	v_mul_lo_u32 v1, s5, v14
	v_mul_lo_u32 v0, s4, v14
	v_lshlrev_b64 v[0:1], 4, v[0:1]
	v_lshlrev_b64 v[2:3], 4, v[16:17]
	v_add_co_u32_e32 v0, vcc, v0, v2
	v_addc_co_u32_e32 v1, vcc, v1, v3, vcc
	s_xor_b64 s[6:7], s[16:17], s[14:15]
	s_waitcnt lgkmcnt(0)
	v_mov_b32_e32 v2, s19
	v_add_co_u32_e32 v0, vcc, s18, v0
	s_and_b64 s[6:7], s[6:7], exec
	v_addc_co_u32_e32 v1, vcc, v1, v2, vcc
	s_cselect_b32 s7, s21, 0
	s_cselect_b32 s6, s20, 1
	v_add_co_u32_e32 v16, vcc, 8, v0
	v_addc_co_u32_e32 v17, vcc, 0, v1, vcc
	v_mul_lo_u32 v1, s7, v14
	v_mul_lo_u32 v0, s6, v14
	v_lshlrev_b64 v[0:1], 4, v[0:1]
	v_lshlrev_b64 v[2:3], 4, v[18:19]
	v_add_co_u32_e32 v0, vcc, v0, v2
	v_addc_co_u32_e32 v1, vcc, v1, v3, vcc
	v_mov_b32_e32 v2, s23
	v_add_co_u32_e32 v0, vcc, s22, v0
	v_addc_co_u32_e32 v1, vcc, v1, v2, vcc
	s_lshl_b64 s[4:5], s[4:5], 5
	v_add_co_u32_e32 v18, vcc, 8, v0
	s_lshl_b64 s[8:9], s[6:7], 5
	v_pk_mov_b32 v[2:3], 0, 0
	v_addc_co_u32_e32 v19, vcc, 0, v1, vcc
	s_mov_b64 s[6:7], 0
	v_mov_b32_e32 v23, s5
	v_mov_b32_e32 v24, s9
	v_pk_mov_b32 v[20:21], v[14:15], v[14:15] op_sel:[0,1]
	v_pk_mov_b32 v[0:1], v[2:3], v[2:3] op_sel:[0,1]
.LBB58_31:                              ; =>This Inner Loop Header: Depth=1
	global_load_dwordx4 v[26:29], v[18:19], off offset:-8
	global_load_dwordx4 v[30:33], v[16:17], off offset:-8
	v_add_co_u32_e32 v20, vcc, 2, v20
	v_addc_co_u32_e32 v21, vcc, 0, v21, vcc
	v_add_co_u32_e32 v16, vcc, s4, v16
	v_addc_co_u32_e32 v17, vcc, v17, v23, vcc
	;; [unrolled: 2-line block ×3, first 2 shown]
	v_cmp_le_i64_e32 vcc, s[12:13], v[20:21]
	s_or_b64 s[6:7], vcc, s[6:7]
	s_waitcnt vmcnt(0)
	v_mul_f64 v[34:35], v[28:29], -v[32:33]
	v_mul_f64 v[28:29], v[28:29], v[30:31]
	v_fmac_f64_e32 v[34:35], v[30:31], v[26:27]
	v_fmac_f64_e32 v[28:29], v[32:33], v[26:27]
	v_add_f64 v[0:1], v[0:1], v[34:35]
	v_add_f64 v[2:3], v[2:3], v[28:29]
	s_andn2_b64 exec, exec, s[6:7]
	s_cbranch_execnz .LBB58_31
; %bb.32:
	s_or_b64 exec, exec, s[6:7]
.LBB58_33:
	s_or_b64 exec, exec, s[2:3]
	v_lshlrev_b32_e32 v15, 5, v22
	v_lshl_or_b32 v16, v14, 4, v15
	v_cmp_eq_u32_e32 vcc, 0, v14
	ds_write_b128 v16, v[0:3]
	s_waitcnt lgkmcnt(0)
	s_barrier
	s_and_saveexec_b64 s[2:3], vcc
	s_cbranch_execz .LBB58_35
; %bb.34:
	ds_read_b128 v[0:3], v15 offset:16
	ds_read_b128 v[18:21], v16
	s_waitcnt lgkmcnt(0)
	v_add_f64 v[0:1], v[0:1], v[18:19]
	v_add_f64 v[2:3], v[2:3], v[20:21]
	ds_write_b128 v16, v[0:3]
.LBB58_35:
	s_or_b64 exec, exec, s[2:3]
	s_waitcnt lgkmcnt(0)
	s_barrier
	s_and_b64 exec, exec, vcc
	s_cbranch_execz .LBB58_37
; %bb.36:
	v_lshlrev_b64 v[0:1], 4, v[12:13]
	v_mov_b32_e32 v2, s1
	v_add_co_u32_e32 v16, vcc, s0, v0
	v_addc_co_u32_e32 v17, vcc, v2, v1, vcc
	global_load_dwordx4 v[0:3], v[16:17], off
	ds_read_b128 v[12:15], v15
	s_waitcnt lgkmcnt(0)
	v_mul_f64 v[18:19], v[14:15], -v[6:7]
	v_mul_f64 v[14:15], v[4:5], v[14:15]
	v_fmac_f64_e32 v[18:19], v[4:5], v[12:13]
	v_fmac_f64_e32 v[14:15], v[6:7], v[12:13]
	s_waitcnt vmcnt(0)
	v_mul_f64 v[4:5], v[10:11], -v[2:3]
	v_mul_f64 v[6:7], v[10:11], v[0:1]
	v_fmac_f64_e32 v[4:5], v[0:1], v[8:9]
	v_fmac_f64_e32 v[6:7], v[2:3], v[8:9]
	v_add_f64 v[0:1], v[4:5], v[18:19]
	v_add_f64 v[2:3], v[6:7], v[14:15]
	global_store_dwordx4 v[16:17], v[0:3], off
.LBB58_37:
	s_endpgm
	.section	.rodata,"a",@progbits
	.p2align	6, 0x0
	.amdhsa_kernel _ZN9rocsparseL16sddmm_ell_kernelILi512ELi2E21rocsparse_complex_numIdEllS2_S2_S2_EEv20rocsparse_operation_S3_16rocsparse_order_S4_T3_S5_S5_T2_NS_24const_host_device_scalarIT1_EEPKT4_lPKT5_lS9_PT6_PKS5_21rocsparse_index_base_b
		.amdhsa_group_segment_fixed_size 16384
		.amdhsa_private_segment_fixed_size 0
		.amdhsa_kernarg_size 136
		.amdhsa_user_sgpr_count 8
		.amdhsa_user_sgpr_private_segment_buffer 1
		.amdhsa_user_sgpr_dispatch_ptr 1
		.amdhsa_user_sgpr_queue_ptr 0
		.amdhsa_user_sgpr_kernarg_segment_ptr 1
		.amdhsa_user_sgpr_dispatch_id 0
		.amdhsa_user_sgpr_flat_scratch_init 0
		.amdhsa_user_sgpr_kernarg_preload_length 0
		.amdhsa_user_sgpr_kernarg_preload_offset 0
		.amdhsa_user_sgpr_private_segment_size 0
		.amdhsa_uses_dynamic_stack 0
		.amdhsa_system_sgpr_private_segment_wavefront_offset 0
		.amdhsa_system_sgpr_workgroup_id_x 1
		.amdhsa_system_sgpr_workgroup_id_y 0
		.amdhsa_system_sgpr_workgroup_id_z 0
		.amdhsa_system_sgpr_workgroup_info 0
		.amdhsa_system_vgpr_workitem_id 2
		.amdhsa_next_free_vgpr 36
		.amdhsa_next_free_sgpr 26
		.amdhsa_accum_offset 36
		.amdhsa_reserve_vcc 1
		.amdhsa_reserve_flat_scratch 0
		.amdhsa_float_round_mode_32 0
		.amdhsa_float_round_mode_16_64 0
		.amdhsa_float_denorm_mode_32 3
		.amdhsa_float_denorm_mode_16_64 3
		.amdhsa_dx10_clamp 1
		.amdhsa_ieee_mode 1
		.amdhsa_fp16_overflow 0
		.amdhsa_tg_split 0
		.amdhsa_exception_fp_ieee_invalid_op 0
		.amdhsa_exception_fp_denorm_src 0
		.amdhsa_exception_fp_ieee_div_zero 0
		.amdhsa_exception_fp_ieee_overflow 0
		.amdhsa_exception_fp_ieee_underflow 0
		.amdhsa_exception_fp_ieee_inexact 0
		.amdhsa_exception_int_div_zero 0
	.end_amdhsa_kernel
	.section	.text._ZN9rocsparseL16sddmm_ell_kernelILi512ELi2E21rocsparse_complex_numIdEllS2_S2_S2_EEv20rocsparse_operation_S3_16rocsparse_order_S4_T3_S5_S5_T2_NS_24const_host_device_scalarIT1_EEPKT4_lPKT5_lS9_PT6_PKS5_21rocsparse_index_base_b,"axG",@progbits,_ZN9rocsparseL16sddmm_ell_kernelILi512ELi2E21rocsparse_complex_numIdEllS2_S2_S2_EEv20rocsparse_operation_S3_16rocsparse_order_S4_T3_S5_S5_T2_NS_24const_host_device_scalarIT1_EEPKT4_lPKT5_lS9_PT6_PKS5_21rocsparse_index_base_b,comdat
.Lfunc_end58:
	.size	_ZN9rocsparseL16sddmm_ell_kernelILi512ELi2E21rocsparse_complex_numIdEllS2_S2_S2_EEv20rocsparse_operation_S3_16rocsparse_order_S4_T3_S5_S5_T2_NS_24const_host_device_scalarIT1_EEPKT4_lPKT5_lS9_PT6_PKS5_21rocsparse_index_base_b, .Lfunc_end58-_ZN9rocsparseL16sddmm_ell_kernelILi512ELi2E21rocsparse_complex_numIdEllS2_S2_S2_EEv20rocsparse_operation_S3_16rocsparse_order_S4_T3_S5_S5_T2_NS_24const_host_device_scalarIT1_EEPKT4_lPKT5_lS9_PT6_PKS5_21rocsparse_index_base_b
                                        ; -- End function
	.section	.AMDGPU.csdata,"",@progbits
; Kernel info:
; codeLenInByte = 2088
; NumSgprs: 30
; NumVgprs: 36
; NumAgprs: 0
; TotalNumVgprs: 36
; ScratchSize: 0
; MemoryBound: 0
; FloatMode: 240
; IeeeMode: 1
; LDSByteSize: 16384 bytes/workgroup (compile time only)
; SGPRBlocks: 3
; VGPRBlocks: 4
; NumSGPRsForWavesPerEU: 30
; NumVGPRsForWavesPerEU: 36
; AccumOffset: 36
; Occupancy: 8
; WaveLimiterHint : 1
; COMPUTE_PGM_RSRC2:SCRATCH_EN: 0
; COMPUTE_PGM_RSRC2:USER_SGPR: 8
; COMPUTE_PGM_RSRC2:TRAP_HANDLER: 0
; COMPUTE_PGM_RSRC2:TGID_X_EN: 1
; COMPUTE_PGM_RSRC2:TGID_Y_EN: 0
; COMPUTE_PGM_RSRC2:TGID_Z_EN: 0
; COMPUTE_PGM_RSRC2:TIDIG_COMP_CNT: 2
; COMPUTE_PGM_RSRC3_GFX90A:ACCUM_OFFSET: 8
; COMPUTE_PGM_RSRC3_GFX90A:TG_SPLIT: 0
	.section	.text._ZN9rocsparseL16sddmm_ell_kernelILi512ELi1E21rocsparse_complex_numIdEllS2_S2_S2_EEv20rocsparse_operation_S3_16rocsparse_order_S4_T3_S5_S5_T2_NS_24const_host_device_scalarIT1_EEPKT4_lPKT5_lS9_PT6_PKS5_21rocsparse_index_base_b,"axG",@progbits,_ZN9rocsparseL16sddmm_ell_kernelILi512ELi1E21rocsparse_complex_numIdEllS2_S2_S2_EEv20rocsparse_operation_S3_16rocsparse_order_S4_T3_S5_S5_T2_NS_24const_host_device_scalarIT1_EEPKT4_lPKT5_lS9_PT6_PKS5_21rocsparse_index_base_b,comdat
	.globl	_ZN9rocsparseL16sddmm_ell_kernelILi512ELi1E21rocsparse_complex_numIdEllS2_S2_S2_EEv20rocsparse_operation_S3_16rocsparse_order_S4_T3_S5_S5_T2_NS_24const_host_device_scalarIT1_EEPKT4_lPKT5_lS9_PT6_PKS5_21rocsparse_index_base_b ; -- Begin function _ZN9rocsparseL16sddmm_ell_kernelILi512ELi1E21rocsparse_complex_numIdEllS2_S2_S2_EEv20rocsparse_operation_S3_16rocsparse_order_S4_T3_S5_S5_T2_NS_24const_host_device_scalarIT1_EEPKT4_lPKT5_lS9_PT6_PKS5_21rocsparse_index_base_b
	.p2align	8
	.type	_ZN9rocsparseL16sddmm_ell_kernelILi512ELi1E21rocsparse_complex_numIdEllS2_S2_S2_EEv20rocsparse_operation_S3_16rocsparse_order_S4_T3_S5_S5_T2_NS_24const_host_device_scalarIT1_EEPKT4_lPKT5_lS9_PT6_PKS5_21rocsparse_index_base_b,@function
_ZN9rocsparseL16sddmm_ell_kernelILi512ELi1E21rocsparse_complex_numIdEllS2_S2_S2_EEv20rocsparse_operation_S3_16rocsparse_order_S4_T3_S5_S5_T2_NS_24const_host_device_scalarIT1_EEPKT4_lPKT5_lS9_PT6_PKS5_21rocsparse_index_base_b: ; @_ZN9rocsparseL16sddmm_ell_kernelILi512ELi1E21rocsparse_complex_numIdEllS2_S2_S2_EEv20rocsparse_operation_S3_16rocsparse_order_S4_T3_S5_S5_T2_NS_24const_host_device_scalarIT1_EEPKT4_lPKT5_lS9_PT6_PKS5_21rocsparse_index_base_b
; %bb.0:
	s_load_dwordx2 s[10:11], s[6:7], 0x80
	s_load_dwordx8 s[12:19], s[6:7], 0x20
	s_load_dwordx4 s[20:23], s[6:7], 0x58
	s_load_dwordx2 s[2:3], s[6:7], 0x68
	s_mov_b64 s[24:25], src_shared_base
	s_load_dwordx2 s[4:5], s[4:5], 0x4
	s_waitcnt lgkmcnt(0)
	s_bitcmp1_b32 s11, 0
	s_cselect_b64 s[0:1], -1, 0
	s_and_b64 vcc, s[0:1], exec
	s_cselect_b32 s9, s25, s17
	s_lshr_b32 s4, s4, 16
	v_and_b32_e32 v18, 0x3ff, v0
	s_mul_i32 s4, s4, s5
	v_mul_lo_u32 v1, s4, v18
	v_bfe_u32 v2, v0, 10, 10
	v_mad_u32_u24 v1, v2, s5, v1
	v_bfe_u32 v0, v0, 20, 10
	v_add_lshl_u32 v6, v1, v0, 3
	v_mov_b32_e32 v4, s16
	v_add_u32_e32 v5, 0x3000, v6
	v_pk_mov_b32 v[0:1], s[16:17], s[16:17] op_sel:[0,1]
	v_pk_mov_b32 v[2:3], s[22:23], s[22:23] op_sel:[0,1]
	ds_write2st64_b64 v6, v[2:3], v[0:1] offset0:16 offset1:24
	v_cndmask_b32_e64 v0, v4, v5, s[0:1]
	v_mov_b32_e32 v1, s9
	flat_load_dwordx2 v[4:5], v[0:1]
	s_xor_b64 s[4:5], s[0:1], -1
	v_add_u32_e32 v0, 0x2000, v6
	v_pk_mov_b32 v[6:7], s[18:19], s[18:19] op_sel:[0,1]
	s_cbranch_vccnz .LBB59_2
; %bb.1:
	v_pk_mov_b32 v[2:3], s[16:17], s[16:17] op_sel:[0,1]
	flat_load_dwordx2 v[6:7], v[2:3] offset:8
.LBB59_2:
	s_and_b64 s[16:17], s[0:1], exec
	s_cselect_b32 s9, s25, s23
	v_mov_b32_e32 v1, s22
	v_cndmask_b32_e64 v0, v1, v0, s[0:1]
	v_mov_b32_e32 v1, s9
	flat_load_dwordx2 v[8:9], v[0:1]
	s_andn2_b64 vcc, exec, s[4:5]
	v_pk_mov_b32 v[10:11], s[2:3], s[2:3] op_sel:[0,1]
	s_cbranch_vccnz .LBB59_4
; %bb.3:
	v_pk_mov_b32 v[0:1], s[22:23], s[22:23] op_sel:[0,1]
	flat_load_dwordx2 v[10:11], v[0:1] offset:8
.LBB59_4:
	s_waitcnt vmcnt(0) lgkmcnt(0)
	v_cmp_eq_f64_e32 vcc, 0, v[4:5]
	v_cmp_eq_f64_e64 s[0:1], 0, v[6:7]
	s_and_b64 s[4:5], vcc, s[0:1]
	s_mov_b64 s[0:1], -1
	s_and_saveexec_b64 s[2:3], s[4:5]
; %bb.5:
	v_cmp_neq_f64_e32 vcc, 1.0, v[8:9]
	v_cmp_neq_f64_e64 s[0:1], 0, v[10:11]
	s_or_b64 s[0:1], vcc, s[0:1]
	s_orn2_b64 s[0:1], s[0:1], exec
; %bb.6:
	s_or_b64 exec, exec, s[2:3]
	s_and_saveexec_b64 s[2:3], s[0:1]
	s_cbranch_execz .LBB59_33
; %bb.7:
	v_lshl_or_b32 v12, s8, 9, v18
	v_mov_b32_e32 v13, 0
	v_cmp_gt_i64_e32 vcc, s[14:15], v[12:13]
	s_and_b64 exec, exec, vcc
	s_cbranch_execz .LBB59_33
; %bb.8:
	s_load_dwordx2 s[8:9], s[6:7], 0x10
	s_load_dwordx2 s[4:5], s[6:7], 0x78
	s_mov_b32 s0, 0
	s_waitcnt lgkmcnt(0)
	s_mov_b32 s1, s9
	s_cmp_lg_u64 s[0:1], 0
	s_cbranch_scc0 .LBB59_16
; %bb.9:
	s_ashr_i32 s0, s9, 31
	s_add_u32 s2, s8, s0
	s_mov_b32 s1, s0
	s_addc_u32 s3, s9, s0
	s_xor_b64 s[16:17], s[2:3], s[0:1]
	v_cvt_f32_u32_e32 v0, s16
	v_cvt_f32_u32_e32 v1, s17
	s_sub_u32 s0, 0, s16
	s_subb_u32 s1, 0, s17
	v_madmk_f32 v0, v1, 0x4f800000, v0
	v_rcp_f32_e32 v0, v0
	v_mul_f32_e32 v0, 0x5f7ffffc, v0
	v_mul_f32_e32 v1, 0x2f800000, v0
	v_trunc_f32_e32 v1, v1
	v_madmk_f32 v0, v1, 0xcf800000, v0
	v_cvt_u32_f32_e32 v1, v1
	v_cvt_u32_f32_e32 v0, v0
	v_mul_lo_u32 v2, s0, v1
	v_mul_hi_u32 v14, s0, v0
	v_mul_lo_u32 v3, s1, v0
	v_add_u32_e32 v2, v14, v2
	v_add_u32_e32 v2, v2, v3
	v_mul_lo_u32 v15, s0, v0
	v_mul_lo_u32 v14, v0, v2
	v_mul_hi_u32 v16, v0, v15
	v_mul_hi_u32 v3, v0, v2
	v_add_co_u32_e32 v14, vcc, v16, v14
	v_addc_co_u32_e32 v3, vcc, 0, v3, vcc
	v_mul_hi_u32 v17, v1, v15
	v_mul_lo_u32 v15, v1, v15
	v_add_co_u32_e32 v14, vcc, v14, v15
	v_mul_hi_u32 v16, v1, v2
	v_addc_co_u32_e32 v3, vcc, v3, v17, vcc
	v_addc_co_u32_e32 v14, vcc, 0, v16, vcc
	v_mul_lo_u32 v2, v1, v2
	v_add_co_u32_e32 v2, vcc, v3, v2
	v_addc_co_u32_e32 v3, vcc, 0, v14, vcc
	v_add_co_u32_e32 v0, vcc, v0, v2
	v_addc_co_u32_e32 v1, vcc, v1, v3, vcc
	v_mul_lo_u32 v2, s0, v1
	v_mul_hi_u32 v3, s0, v0
	v_add_u32_e32 v2, v3, v2
	v_mul_lo_u32 v3, s1, v0
	v_add_u32_e32 v2, v2, v3
	v_mul_lo_u32 v14, s0, v0
	v_mul_hi_u32 v15, v1, v14
	v_mul_lo_u32 v16, v1, v14
	v_mul_lo_u32 v19, v0, v2
	v_mul_hi_u32 v14, v0, v14
	v_mul_hi_u32 v17, v0, v2
	v_add_co_u32_e32 v14, vcc, v14, v19
	v_addc_co_u32_e32 v17, vcc, 0, v17, vcc
	v_add_co_u32_e32 v14, vcc, v14, v16
	v_mul_hi_u32 v3, v1, v2
	v_addc_co_u32_e32 v14, vcc, v17, v15, vcc
	v_addc_co_u32_e32 v3, vcc, 0, v3, vcc
	v_mul_lo_u32 v2, v1, v2
	v_add_co_u32_e32 v2, vcc, v14, v2
	v_addc_co_u32_e32 v3, vcc, 0, v3, vcc
	v_add_co_u32_e32 v2, vcc, v0, v2
	v_addc_co_u32_e32 v3, vcc, v1, v3, vcc
	v_mad_u64_u32 v[0:1], s[0:1], v12, v3, 0
	v_mul_hi_u32 v14, v12, v2
	v_add_co_u32_e32 v14, vcc, v14, v0
	v_addc_co_u32_e32 v15, vcc, 0, v1, vcc
	v_mad_u64_u32 v[0:1], s[0:1], 0, v3, 0
	v_mad_u64_u32 v[2:3], s[0:1], 0, v2, 0
	v_add_co_u32_e32 v2, vcc, v14, v2
	v_addc_co_u32_e32 v2, vcc, v15, v3, vcc
	v_addc_co_u32_e32 v1, vcc, 0, v1, vcc
	v_add_co_u32_e32 v0, vcc, v2, v0
	v_addc_co_u32_e32 v1, vcc, 0, v1, vcc
	v_mul_lo_u32 v2, s17, v0
	v_mul_lo_u32 v3, s16, v1
	v_mad_u64_u32 v[0:1], s[0:1], s16, v0, 0
	v_add3_u32 v1, v1, v3, v2
	v_sub_u32_e32 v2, 0, v1
	v_mov_b32_e32 v3, s17
	v_sub_co_u32_e32 v0, vcc, v12, v0
	v_subb_co_u32_e64 v2, s[0:1], v2, v3, vcc
	v_subrev_co_u32_e64 v14, s[0:1], s16, v0
	v_subbrev_co_u32_e64 v15, s[2:3], 0, v2, s[0:1]
	v_cmp_le_u32_e64 s[2:3], s17, v15
	v_cndmask_b32_e64 v16, 0, -1, s[2:3]
	v_cmp_le_u32_e64 s[2:3], s16, v14
	v_subb_co_u32_e64 v2, s[0:1], v2, v3, s[0:1]
	v_cndmask_b32_e64 v17, 0, -1, s[2:3]
	v_cmp_eq_u32_e64 s[2:3], s17, v15
	v_subrev_co_u32_e64 v3, s[0:1], s16, v14
	v_cndmask_b32_e64 v16, v16, v17, s[2:3]
	v_subbrev_co_u32_e64 v2, s[0:1], 0, v2, s[0:1]
	v_subb_co_u32_e32 v1, vcc, 0, v1, vcc
	v_cmp_ne_u32_e64 s[0:1], 0, v16
	v_cmp_le_u32_e32 vcc, s17, v1
	v_cndmask_b32_e64 v2, v15, v2, s[0:1]
	v_cndmask_b32_e64 v15, 0, -1, vcc
	v_cmp_le_u32_e32 vcc, s16, v0
	v_cndmask_b32_e64 v16, 0, -1, vcc
	v_cmp_eq_u32_e32 vcc, s17, v1
	v_cndmask_b32_e32 v15, v15, v16, vcc
	v_cmp_ne_u32_e32 vcc, 0, v15
	v_cndmask_b32_e32 v1, v1, v2, vcc
	v_cndmask_b32_e64 v2, v14, v3, s[0:1]
	v_cndmask_b32_e32 v0, v0, v2, vcc
	v_subrev_co_u32_e32 v2, vcc, 0, v0
	v_subbrev_co_u32_e32 v3, vcc, 0, v1, vcc
	s_cbranch_execnz .LBB59_11
.LBB59_10:
	v_cvt_f32_u32_e32 v0, s8
	s_sub_i32 s0, 0, s8
	v_mov_b32_e32 v3, 0
	v_rcp_iflag_f32_e32 v0, v0
	v_mul_f32_e32 v0, 0x4f7ffffe, v0
	v_cvt_u32_f32_e32 v0, v0
	v_mul_lo_u32 v1, s0, v0
	v_mul_hi_u32 v1, v0, v1
	v_add_u32_e32 v0, v0, v1
	v_mul_hi_u32 v0, v12, v0
	v_mul_lo_u32 v0, v0, s8
	v_sub_u32_e32 v0, v12, v0
	v_subrev_u32_e32 v1, s8, v0
	v_cmp_le_u32_e32 vcc, s8, v0
	v_cndmask_b32_e32 v0, v0, v1, vcc
	v_subrev_u32_e32 v1, s8, v0
	v_cmp_le_u32_e32 vcc, s8, v0
	v_cndmask_b32_e32 v2, v0, v1, vcc
.LBB59_11:
	v_lshlrev_b64 v[0:1], 3, v[12:13]
	v_mov_b32_e32 v14, s5
	v_add_co_u32_e32 v0, vcc, s4, v0
	v_addc_co_u32_e32 v1, vcc, v14, v1, vcc
	global_load_dwordx2 v[0:1], v[0:1], off
	s_mov_b64 s[16:17], -1
	s_waitcnt vmcnt(0)
	v_subrev_co_u32_e32 v0, vcc, s10, v0
	v_subbrev_co_u32_e32 v1, vcc, 0, v1, vcc
	v_cmp_lt_i64_e32 vcc, -1, v[0:1]
	s_and_b64 exec, exec, vcc
	s_cbranch_execz .LBB59_33
; %bb.12:
	s_load_dwordx4 s[0:3], s[6:7], 0x0
	s_load_dwordx2 s[4:5], s[6:7], 0x48
	s_waitcnt lgkmcnt(0)
	s_cmp_eq_u32 s2, 1
	s_cselect_b64 s[8:9], -1, 0
	s_cmpk_eq_i32 s0, 0x6f
	s_cselect_b64 s[10:11], -1, 0
	s_cmpk_lg_i32 s0, 0x6f
	s_cselect_b64 s[14:15], -1, 0
	s_cmp_lg_u32 s2, 1
	s_cbranch_scc0 .LBB59_17
; %bb.13:
	s_andn2_b64 vcc, exec, s[10:11]
	v_pk_mov_b32 v[14:15], v[2:3], v[2:3] op_sel:[0,1]
	s_cbranch_vccnz .LBB59_15
; %bb.14:
	v_mul_lo_u32 v16, v3, s4
	v_mul_lo_u32 v17, v2, s5
	v_mad_u64_u32 v[14:15], s[16:17], v2, s4, 0
	v_add3_u32 v15, v15, v17, v16
.LBB59_15:
	s_cbranch_execz .LBB59_18
	s_branch .LBB59_21
.LBB59_16:
                                        ; implicit-def: $vgpr2_vgpr3
	s_branch .LBB59_10
.LBB59_17:
                                        ; implicit-def: $vgpr14_vgpr15
	s_andn2_b64 vcc, exec, s[16:17]
	s_cbranch_vccnz .LBB59_21
.LBB59_18:
	s_andn2_b64 vcc, exec, s[14:15]
	s_cbranch_vccnz .LBB59_20
; %bb.19:
	v_mul_lo_u32 v14, v3, s4
	v_mul_lo_u32 v15, v2, s5
	v_mad_u64_u32 v[2:3], s[14:15], v2, s4, 0
	v_add3_u32 v3, v3, v15, v14
.LBB59_20:
	v_pk_mov_b32 v[14:15], v[2:3], v[2:3] op_sel:[0,1]
.LBB59_21:
	s_cmp_eq_u32 s3, 1
	s_cselect_b64 s[14:15], -1, 0
	s_cmpk_eq_i32 s1, 0x6f
	s_cselect_b64 s[16:17], -1, 0
	s_cmpk_lg_i32 s1, 0x6f
	s_cselect_b64 s[0:1], -1, 0
	s_cmp_lg_u32 s3, 1
	s_cbranch_scc0 .LBB59_25
; %bb.22:
	s_andn2_b64 vcc, exec, s[0:1]
	v_pk_mov_b32 v[16:17], v[0:1], v[0:1] op_sel:[0,1]
	s_cbranch_vccnz .LBB59_24
; %bb.23:
	v_mul_lo_u32 v2, v1, s20
	v_mul_lo_u32 v3, v0, s21
	v_mad_u64_u32 v[16:17], s[0:1], v0, s20, 0
	v_add3_u32 v17, v17, v3, v2
.LBB59_24:
	s_cbranch_execz .LBB59_26
	s_branch .LBB59_29
.LBB59_25:
                                        ; implicit-def: $vgpr16_vgpr17
.LBB59_26:
	s_andn2_b64 vcc, exec, s[16:17]
	s_cbranch_vccnz .LBB59_28
; %bb.27:
	v_mul_lo_u32 v2, v1, s20
	v_mul_lo_u32 v3, v0, s21
	v_mad_u64_u32 v[0:1], s[0:1], v0, s20, 0
	v_add3_u32 v1, v1, v3, v2
.LBB59_28:
	v_pk_mov_b32 v[16:17], v[0:1], v[0:1] op_sel:[0,1]
.LBB59_29:
	s_load_dwordx2 s[0:1], s[6:7], 0x70
	v_cmp_lt_i64_e64 s[2:3], s[12:13], 1
	v_pk_mov_b32 v[2:3], 0, 0
	s_and_b64 vcc, exec, s[2:3]
	v_pk_mov_b32 v[0:1], v[2:3], v[2:3] op_sel:[0,1]
	s_cbranch_vccnz .LBB59_32
; %bb.30:
	s_load_dwordx2 s[18:19], s[6:7], 0x40
	s_load_dwordx2 s[2:3], s[6:7], 0x50
	v_lshlrev_b64 v[0:1], 4, v[16:17]
	s_xor_b64 s[6:7], s[10:11], s[8:9]
	s_and_b64 s[6:7], s[6:7], exec
	s_cselect_b32 s5, 0, s5
	s_waitcnt lgkmcnt(0)
	v_mov_b32_e32 v2, s3
	v_add_co_u32_e32 v0, vcc, s2, v0
	v_addc_co_u32_e32 v1, vcc, v1, v2, vcc
	v_add_co_u32_e32 v16, vcc, 8, v0
	s_cselect_b32 s4, 1, s4
	s_xor_b64 s[6:7], s[16:17], s[14:15]
	v_addc_co_u32_e32 v17, vcc, 0, v1, vcc
	v_lshlrev_b64 v[0:1], 4, v[14:15]
	s_and_b64 s[6:7], s[6:7], exec
	v_mov_b32_e32 v2, s19
	v_add_co_u32_e32 v0, vcc, s18, v0
	s_cselect_b32 s7, s21, 0
	s_cselect_b32 s6, s20, 1
	v_addc_co_u32_e32 v1, vcc, v1, v2, vcc
	s_lshl_b64 s[2:3], s[6:7], 4
	v_add_co_u32_e32 v14, vcc, 8, v0
	s_lshl_b64 s[4:5], s[4:5], 4
	v_pk_mov_b32 v[2:3], 0, 0
	v_addc_co_u32_e32 v15, vcc, 0, v1, vcc
	v_mov_b32_e32 v19, s3
	v_mov_b32_e32 v20, s5
	v_pk_mov_b32 v[0:1], v[2:3], v[2:3] op_sel:[0,1]
.LBB59_31:                              ; =>This Inner Loop Header: Depth=1
	global_load_dwordx4 v[22:25], v[16:17], off offset:-8
	global_load_dwordx4 v[26:29], v[14:15], off offset:-8
	v_add_co_u32_e32 v16, vcc, s2, v16
	s_add_u32 s12, s12, -1
	v_addc_co_u32_e32 v17, vcc, v17, v19, vcc
	v_add_co_u32_e32 v14, vcc, s4, v14
	s_addc_u32 s13, s13, -1
	v_addc_co_u32_e32 v15, vcc, v15, v20, vcc
	s_cmp_eq_u64 s[12:13], 0
	s_waitcnt vmcnt(0)
	v_mul_f64 v[30:31], v[24:25], -v[28:29]
	v_mul_f64 v[24:25], v[24:25], v[26:27]
	v_fmac_f64_e32 v[30:31], v[26:27], v[22:23]
	v_fmac_f64_e32 v[24:25], v[28:29], v[22:23]
	v_add_f64 v[0:1], v[0:1], v[30:31]
	v_add_f64 v[2:3], v[2:3], v[24:25]
	s_cbranch_scc0 .LBB59_31
.LBB59_32:
	v_lshlrev_b32_e32 v14, 4, v18
	ds_write_b128 v14, v[0:3]
	v_lshlrev_b64 v[0:1], 4, v[12:13]
	s_waitcnt lgkmcnt(0)
	v_mov_b32_e32 v2, s1
	v_add_co_u32_e32 v16, vcc, s0, v0
	v_addc_co_u32_e32 v17, vcc, v2, v1, vcc
	s_barrier
	global_load_dwordx4 v[0:3], v[16:17], off
	ds_read_b128 v[12:15], v14
	s_waitcnt lgkmcnt(0)
	v_mul_f64 v[18:19], v[14:15], -v[6:7]
	v_mul_f64 v[14:15], v[4:5], v[14:15]
	v_fmac_f64_e32 v[18:19], v[4:5], v[12:13]
	v_fmac_f64_e32 v[14:15], v[6:7], v[12:13]
	s_waitcnt vmcnt(0)
	v_mul_f64 v[4:5], v[10:11], -v[2:3]
	v_mul_f64 v[6:7], v[10:11], v[0:1]
	v_fmac_f64_e32 v[4:5], v[0:1], v[8:9]
	v_fmac_f64_e32 v[6:7], v[2:3], v[8:9]
	v_add_f64 v[0:1], v[4:5], v[18:19]
	v_add_f64 v[2:3], v[6:7], v[14:15]
	global_store_dwordx4 v[16:17], v[0:3], off
.LBB59_33:
	s_endpgm
	.section	.rodata,"a",@progbits
	.p2align	6, 0x0
	.amdhsa_kernel _ZN9rocsparseL16sddmm_ell_kernelILi512ELi1E21rocsparse_complex_numIdEllS2_S2_S2_EEv20rocsparse_operation_S3_16rocsparse_order_S4_T3_S5_S5_T2_NS_24const_host_device_scalarIT1_EEPKT4_lPKT5_lS9_PT6_PKS5_21rocsparse_index_base_b
		.amdhsa_group_segment_fixed_size 16384
		.amdhsa_private_segment_fixed_size 0
		.amdhsa_kernarg_size 136
		.amdhsa_user_sgpr_count 8
		.amdhsa_user_sgpr_private_segment_buffer 1
		.amdhsa_user_sgpr_dispatch_ptr 1
		.amdhsa_user_sgpr_queue_ptr 0
		.amdhsa_user_sgpr_kernarg_segment_ptr 1
		.amdhsa_user_sgpr_dispatch_id 0
		.amdhsa_user_sgpr_flat_scratch_init 0
		.amdhsa_user_sgpr_kernarg_preload_length 0
		.amdhsa_user_sgpr_kernarg_preload_offset 0
		.amdhsa_user_sgpr_private_segment_size 0
		.amdhsa_uses_dynamic_stack 0
		.amdhsa_system_sgpr_private_segment_wavefront_offset 0
		.amdhsa_system_sgpr_workgroup_id_x 1
		.amdhsa_system_sgpr_workgroup_id_y 0
		.amdhsa_system_sgpr_workgroup_id_z 0
		.amdhsa_system_sgpr_workgroup_info 0
		.amdhsa_system_vgpr_workitem_id 2
		.amdhsa_next_free_vgpr 32
		.amdhsa_next_free_sgpr 26
		.amdhsa_accum_offset 32
		.amdhsa_reserve_vcc 1
		.amdhsa_reserve_flat_scratch 0
		.amdhsa_float_round_mode_32 0
		.amdhsa_float_round_mode_16_64 0
		.amdhsa_float_denorm_mode_32 3
		.amdhsa_float_denorm_mode_16_64 3
		.amdhsa_dx10_clamp 1
		.amdhsa_ieee_mode 1
		.amdhsa_fp16_overflow 0
		.amdhsa_tg_split 0
		.amdhsa_exception_fp_ieee_invalid_op 0
		.amdhsa_exception_fp_denorm_src 0
		.amdhsa_exception_fp_ieee_div_zero 0
		.amdhsa_exception_fp_ieee_overflow 0
		.amdhsa_exception_fp_ieee_underflow 0
		.amdhsa_exception_fp_ieee_inexact 0
		.amdhsa_exception_int_div_zero 0
	.end_amdhsa_kernel
	.section	.text._ZN9rocsparseL16sddmm_ell_kernelILi512ELi1E21rocsparse_complex_numIdEllS2_S2_S2_EEv20rocsparse_operation_S3_16rocsparse_order_S4_T3_S5_S5_T2_NS_24const_host_device_scalarIT1_EEPKT4_lPKT5_lS9_PT6_PKS5_21rocsparse_index_base_b,"axG",@progbits,_ZN9rocsparseL16sddmm_ell_kernelILi512ELi1E21rocsparse_complex_numIdEllS2_S2_S2_EEv20rocsparse_operation_S3_16rocsparse_order_S4_T3_S5_S5_T2_NS_24const_host_device_scalarIT1_EEPKT4_lPKT5_lS9_PT6_PKS5_21rocsparse_index_base_b,comdat
.Lfunc_end59:
	.size	_ZN9rocsparseL16sddmm_ell_kernelILi512ELi1E21rocsparse_complex_numIdEllS2_S2_S2_EEv20rocsparse_operation_S3_16rocsparse_order_S4_T3_S5_S5_T2_NS_24const_host_device_scalarIT1_EEPKT4_lPKT5_lS9_PT6_PKS5_21rocsparse_index_base_b, .Lfunc_end59-_ZN9rocsparseL16sddmm_ell_kernelILi512ELi1E21rocsparse_complex_numIdEllS2_S2_S2_EEv20rocsparse_operation_S3_16rocsparse_order_S4_T3_S5_S5_T2_NS_24const_host_device_scalarIT1_EEPKT4_lPKT5_lS9_PT6_PKS5_21rocsparse_index_base_b
                                        ; -- End function
	.section	.AMDGPU.csdata,"",@progbits
; Kernel info:
; codeLenInByte = 1904
; NumSgprs: 30
; NumVgprs: 32
; NumAgprs: 0
; TotalNumVgprs: 32
; ScratchSize: 0
; MemoryBound: 0
; FloatMode: 240
; IeeeMode: 1
; LDSByteSize: 16384 bytes/workgroup (compile time only)
; SGPRBlocks: 3
; VGPRBlocks: 3
; NumSGPRsForWavesPerEU: 30
; NumVGPRsForWavesPerEU: 32
; AccumOffset: 32
; Occupancy: 8
; WaveLimiterHint : 1
; COMPUTE_PGM_RSRC2:SCRATCH_EN: 0
; COMPUTE_PGM_RSRC2:USER_SGPR: 8
; COMPUTE_PGM_RSRC2:TRAP_HANDLER: 0
; COMPUTE_PGM_RSRC2:TGID_X_EN: 1
; COMPUTE_PGM_RSRC2:TGID_Y_EN: 0
; COMPUTE_PGM_RSRC2:TGID_Z_EN: 0
; COMPUTE_PGM_RSRC2:TIDIG_COMP_CNT: 2
; COMPUTE_PGM_RSRC3_GFX90A:ACCUM_OFFSET: 7
; COMPUTE_PGM_RSRC3_GFX90A:TG_SPLIT: 0
	.section	.text._ZN9rocsparseL16sddmm_ell_kernelILi512ELi8EfiiDF16_DF16_fEEv20rocsparse_operation_S1_16rocsparse_order_S2_T3_S3_S3_T2_NS_24const_host_device_scalarIT1_EEPKT4_lPKT5_lS7_PT6_PKS3_21rocsparse_index_base_b,"axG",@progbits,_ZN9rocsparseL16sddmm_ell_kernelILi512ELi8EfiiDF16_DF16_fEEv20rocsparse_operation_S1_16rocsparse_order_S2_T3_S3_S3_T2_NS_24const_host_device_scalarIT1_EEPKT4_lPKT5_lS7_PT6_PKS3_21rocsparse_index_base_b,comdat
	.globl	_ZN9rocsparseL16sddmm_ell_kernelILi512ELi8EfiiDF16_DF16_fEEv20rocsparse_operation_S1_16rocsparse_order_S2_T3_S3_S3_T2_NS_24const_host_device_scalarIT1_EEPKT4_lPKT5_lS7_PT6_PKS3_21rocsparse_index_base_b ; -- Begin function _ZN9rocsparseL16sddmm_ell_kernelILi512ELi8EfiiDF16_DF16_fEEv20rocsparse_operation_S1_16rocsparse_order_S2_T3_S3_S3_T2_NS_24const_host_device_scalarIT1_EEPKT4_lPKT5_lS7_PT6_PKS3_21rocsparse_index_base_b
	.p2align	8
	.type	_ZN9rocsparseL16sddmm_ell_kernelILi512ELi8EfiiDF16_DF16_fEEv20rocsparse_operation_S1_16rocsparse_order_S2_T3_S3_S3_T2_NS_24const_host_device_scalarIT1_EEPKT4_lPKT5_lS7_PT6_PKS3_21rocsparse_index_base_b,@function
_ZN9rocsparseL16sddmm_ell_kernelILi512ELi8EfiiDF16_DF16_fEEv20rocsparse_operation_S1_16rocsparse_order_S2_T3_S3_S3_T2_NS_24const_host_device_scalarIT1_EEPKT4_lPKT5_lS7_PT6_PKS3_21rocsparse_index_base_b: ; @_ZN9rocsparseL16sddmm_ell_kernelILi512ELi8EfiiDF16_DF16_fEEv20rocsparse_operation_S1_16rocsparse_order_S2_T3_S3_S3_T2_NS_24const_host_device_scalarIT1_EEPKT4_lPKT5_lS7_PT6_PKS3_21rocsparse_index_base_b
; %bb.0:
	s_load_dwordx2 s[8:9], s[4:5], 0x60
	s_load_dwordx2 s[12:13], s[4:5], 0x20
	s_load_dwordx4 s[0:3], s[4:5], 0x40
	s_waitcnt lgkmcnt(0)
	s_bitcmp1_b32 s9, 0
	s_cselect_b64 s[14:15], -1, 0
	s_xor_b64 s[10:11], s[14:15], -1
	s_and_b64 vcc, exec, s[14:15]
	s_cbranch_vccnz .LBB60_2
; %bb.1:
	s_load_dword s12, s[12:13], 0x0
.LBB60_2:
	s_andn2_b64 vcc, exec, s[10:11]
	s_cbranch_vccnz .LBB60_4
; %bb.3:
	s_load_dword s2, s[2:3], 0x0
.LBB60_4:
	s_waitcnt lgkmcnt(0)
	v_cmp_eq_f32_e64 s[10:11], s12, 0
	v_cmp_eq_f32_e64 s[14:15], s2, 1.0
	s_and_b64 s[10:11], s[10:11], s[14:15]
	s_and_b64 vcc, exec, s[10:11]
	s_cbranch_vccnz .LBB60_35
; %bb.5:
	s_load_dwordx2 s[14:15], s[4:5], 0x18
	v_lshrrev_b32_e32 v10, 3, v0
	v_lshl_or_b32 v6, s6, 6, v10
	s_waitcnt lgkmcnt(0)
	v_cmp_gt_i32_e32 vcc, s15, v6
	s_and_saveexec_b64 s[6:7], vcc
	s_cbranch_execz .LBB60_35
; %bb.6:
	s_load_dwordx2 s[6:7], s[4:5], 0x58
	v_ashrrev_i32_e32 v7, 31, v6
	v_lshlrev_b64 v[2:3], 2, v[6:7]
	s_waitcnt lgkmcnt(0)
	v_mov_b32_e32 v1, s7
	v_add_co_u32_e32 v4, vcc, s6, v2
	v_addc_co_u32_e32 v5, vcc, v1, v3, vcc
	global_load_dword v1, v[4:5], off
	s_waitcnt vmcnt(0)
	v_subrev_u32_e32 v4, s8, v1
	v_cmp_lt_i32_e32 vcc, -1, v4
	s_and_b64 exec, exec, vcc
	s_cbranch_execz .LBB60_35
; %bb.7:
	s_load_dwordx4 s[8:11], s[4:5], 0x0
	s_load_dword s3, s[4:5], 0x10
	v_sub_u32_e32 v5, 0, v6
	v_max_i32_e32 v5, v6, v5
	s_load_dwordx2 s[18:19], s[4:5], 0x30
	s_waitcnt lgkmcnt(0)
	s_cmp_eq_u32 s10, 1
	s_cselect_b64 s[6:7], -1, 0
	s_cmpk_eq_i32 s8, 0x6f
	s_cselect_b64 s[16:17], -1, 0
	s_cmpk_lg_i32 s8, 0x6f
	s_cselect_b64 s[20:21], -1, 0
	s_abs_i32 s3, s3
	v_cvt_f32_u32_e32 v1, s3
	s_sub_i32 s8, 0, s3
	s_cmp_lg_u32 s10, 1
	v_rcp_iflag_f32_e32 v1, v1
	v_mul_f32_e32 v1, 0x4f7ffffe, v1
	v_cvt_u32_f32_e32 v1, v1
	v_mul_lo_u32 v6, s8, v1
	v_mul_hi_u32 v6, v1, v6
	v_add_u32_e32 v1, v1, v6
	v_mul_hi_u32 v1, v5, v1
	v_mul_lo_u32 v1, v1, s3
	v_sub_u32_e32 v1, v5, v1
	v_subrev_u32_e32 v5, s3, v1
	v_cmp_le_u32_e32 vcc, s3, v1
	v_cndmask_b32_e32 v1, v1, v5, vcc
	v_subrev_u32_e32 v5, s3, v1
	v_cmp_le_u32_e32 vcc, s3, v1
	v_cndmask_b32_e32 v1, v1, v5, vcc
	v_xor_b32_e32 v1, v1, v7
	v_sub_u32_e32 v8, v1, v7
	v_ashrrev_i32_e32 v9, 31, v8
	s_cbranch_scc0 .LBB60_11
; %bb.8:
	s_andn2_b64 vcc, exec, s[16:17]
	v_pk_mov_b32 v[6:7], v[8:9], v[8:9] op_sel:[0,1]
	s_cbranch_vccnz .LBB60_10
; %bb.9:
	v_mul_lo_u32 v1, v9, s18
	v_mul_lo_u32 v5, v8, s19
	v_mad_u64_u32 v[6:7], s[22:23], v8, s18, 0
	v_add3_u32 v7, v7, v5, v1
.LBB60_10:
	s_cbranch_execz .LBB60_12
	s_branch .LBB60_15
.LBB60_11:
                                        ; implicit-def: $vgpr6_vgpr7
.LBB60_12:
	s_andn2_b64 vcc, exec, s[20:21]
	s_cbranch_vccnz .LBB60_14
; %bb.13:
	v_mul_lo_u32 v1, v9, s18
	v_mul_lo_u32 v5, v8, s19
	v_mad_u64_u32 v[8:9], s[20:21], v8, s18, 0
	v_add3_u32 v9, v9, v5, v1
.LBB60_14:
	v_pk_mov_b32 v[6:7], v[8:9], v[8:9] op_sel:[0,1]
.LBB60_15:
	s_cmp_eq_u32 s11, 1
	s_cselect_b64 s[20:21], -1, 0
	s_cmpk_eq_i32 s9, 0x6f
	s_cselect_b64 s[22:23], -1, 0
	s_cmpk_lg_i32 s9, 0x6f
	s_cselect_b64 s[8:9], -1, 0
	s_cmp_lg_u32 s11, 1
	v_mov_b32_e32 v5, 0
	s_cbranch_scc0 .LBB60_19
; %bb.16:
	s_andn2_b64 vcc, exec, s[8:9]
	v_pk_mov_b32 v[8:9], v[4:5], v[4:5] op_sel:[0,1]
	s_cbranch_vccnz .LBB60_18
; %bb.17:
	v_mad_u64_u32 v[8:9], s[8:9], v4, s0, 0
	v_mov_b32_e32 v12, v9
	v_mad_u64_u32 v[12:13], s[8:9], v4, s1, v[12:13]
	v_mov_b32_e32 v9, v12
.LBB60_18:
	s_cbranch_execz .LBB60_20
	s_branch .LBB60_23
.LBB60_19:
                                        ; implicit-def: $vgpr8_vgpr9
.LBB60_20:
	s_andn2_b64 vcc, exec, s[22:23]
	s_cbranch_vccnz .LBB60_22
; %bb.21:
	v_mad_u64_u32 v[8:9], s[8:9], v4, s0, 0
	v_mov_b32_e32 v12, v9
	v_mad_u64_u32 v[4:5], s[8:9], v4, s1, v[12:13]
	v_mov_b32_e32 v9, v4
	v_pk_mov_b32 v[4:5], v[8:9], v[8:9] op_sel:[0,1]
.LBB60_22:
	v_pk_mov_b32 v[8:9], v[4:5], v[4:5] op_sel:[0,1]
.LBB60_23:
	s_load_dwordx2 s[8:9], s[4:5], 0x50
	v_and_b32_e32 v11, 7, v0
	v_cmp_gt_i32_e32 vcc, s14, v11
	v_mov_b32_e32 v12, 0
	s_and_saveexec_b64 s[10:11], vcc
	s_cbranch_execz .LBB60_27
; %bb.24:
	s_load_dwordx2 s[24:25], s[4:5], 0x28
	s_load_dwordx2 s[26:27], s[4:5], 0x38
	s_xor_b64 s[4:5], s[16:17], s[6:7]
	s_and_b64 s[4:5], s[4:5], exec
	s_cselect_b32 s5, 0, s19
	s_cselect_b32 s4, 1, s18
	s_xor_b64 s[6:7], s[22:23], s[20:21]
	s_and_b64 s[6:7], s[6:7], exec
	v_and_b32_e32 v12, 7, v0
	s_cselect_b32 s7, s1, 0
	s_cselect_b32 s6, s0, 1
	v_mad_u64_u32 v[0:1], s[0:1], s4, v12, 0
	v_mov_b32_e32 v4, v1
	v_mad_u64_u32 v[4:5], s[0:1], s5, v12, v[4:5]
	v_mov_b32_e32 v1, v4
	v_lshlrev_b64 v[0:1], 1, v[0:1]
	v_lshlrev_b64 v[4:5], 1, v[6:7]
	v_add_co_u32_e32 v0, vcc, v0, v4
	v_addc_co_u32_e32 v1, vcc, v1, v5, vcc
	s_waitcnt lgkmcnt(0)
	v_mov_b32_e32 v4, s25
	v_add_co_u32_e32 v0, vcc, s24, v0
	v_addc_co_u32_e32 v1, vcc, v4, v1, vcc
	s_lshl_b64 s[0:1], s[4:5], 4
	v_mad_u64_u32 v[4:5], s[4:5], s6, v12, 0
	v_mov_b32_e32 v6, v5
	v_mad_u64_u32 v[6:7], s[4:5], s7, v12, v[6:7]
	v_mov_b32_e32 v5, v6
	v_lshlrev_b64 v[4:5], 1, v[4:5]
	v_lshlrev_b64 v[6:7], 1, v[8:9]
	v_add_co_u32_e32 v4, vcc, v4, v6
	v_addc_co_u32_e32 v5, vcc, v5, v7, vcc
	v_mov_b32_e32 v6, s27
	v_add_co_u32_e32 v4, vcc, s26, v4
	s_lshl_b64 s[6:7], s[6:7], 4
	v_addc_co_u32_e32 v5, vcc, v6, v5, vcc
	s_mov_b64 s[4:5], 0
	v_mov_b32_e32 v12, 0
	v_mov_b32_e32 v6, s1
	;; [unrolled: 1-line block ×4, first 2 shown]
.LBB60_25:                              ; =>This Inner Loop Header: Depth=1
	global_load_ushort v9, v[0:1], off
	global_load_ushort v13, v[4:5], off
	v_add_co_u32_e32 v0, vcc, s0, v0
	v_addc_co_u32_e32 v1, vcc, v1, v6, vcc
	v_add_co_u32_e32 v4, vcc, s6, v4
	v_add_u32_e32 v8, 8, v8
	v_addc_co_u32_e32 v5, vcc, v5, v7, vcc
	v_cmp_le_i32_e32 vcc, s14, v8
	s_or_b64 s[4:5], vcc, s[4:5]
	s_waitcnt vmcnt(0)
	v_mul_f16_e32 v9, v9, v13
	v_cvt_f32_f16_e32 v9, v9
	v_add_f32_e32 v12, v12, v9
	s_andn2_b64 exec, exec, s[4:5]
	s_cbranch_execnz .LBB60_25
; %bb.26:
	s_or_b64 exec, exec, s[4:5]
.LBB60_27:
	s_or_b64 exec, exec, s[10:11]
	v_lshlrev_b32_e32 v0, 2, v11
	v_lshl_or_b32 v0, v10, 5, v0
	v_cmp_gt_u32_e32 vcc, 4, v11
	ds_write_b32 v0, v12
	s_waitcnt lgkmcnt(0)
	s_barrier
	s_and_saveexec_b64 s[0:1], vcc
	s_cbranch_execz .LBB60_29
; %bb.28:
	ds_read2_b32 v[4:5], v0 offset1:4
	s_waitcnt lgkmcnt(0)
	v_add_f32_e32 v1, v5, v4
	ds_write_b32 v0, v1
.LBB60_29:
	s_or_b64 exec, exec, s[0:1]
	v_cmp_gt_u32_e32 vcc, 2, v11
	s_waitcnt lgkmcnt(0)
	s_barrier
	s_and_saveexec_b64 s[0:1], vcc
	s_cbranch_execz .LBB60_31
; %bb.30:
	ds_read2_b32 v[4:5], v0 offset1:2
	s_waitcnt lgkmcnt(0)
	v_add_f32_e32 v1, v5, v4
	ds_write_b32 v0, v1
.LBB60_31:
	s_or_b64 exec, exec, s[0:1]
	v_cmp_eq_u32_e32 vcc, 0, v11
	v_lshlrev_b32_e32 v1, 5, v10
	s_waitcnt lgkmcnt(0)
	s_barrier
	s_and_saveexec_b64 s[0:1], vcc
	s_cbranch_execz .LBB60_33
; %bb.32:
	ds_read_b32 v4, v1 offset:4
	ds_read_b32 v5, v0
	s_waitcnt lgkmcnt(0)
	v_add_f32_e32 v4, v4, v5
	ds_write_b32 v0, v4
.LBB60_33:
	s_or_b64 exec, exec, s[0:1]
	s_waitcnt lgkmcnt(0)
	s_barrier
	s_and_b64 exec, exec, vcc
	s_cbranch_execz .LBB60_35
; %bb.34:
	v_mov_b32_e32 v0, s9
	v_add_co_u32_e32 v2, vcc, s8, v2
	v_addc_co_u32_e32 v3, vcc, v0, v3, vcc
	global_load_dword v0, v[2:3], off
	ds_read_b32 v1, v1
	s_waitcnt lgkmcnt(0)
	v_mul_f32_e32 v1, s12, v1
	s_waitcnt vmcnt(0)
	v_fmac_f32_e32 v1, s2, v0
	global_store_dword v[2:3], v1, off
.LBB60_35:
	s_endpgm
	.section	.rodata,"a",@progbits
	.p2align	6, 0x0
	.amdhsa_kernel _ZN9rocsparseL16sddmm_ell_kernelILi512ELi8EfiiDF16_DF16_fEEv20rocsparse_operation_S1_16rocsparse_order_S2_T3_S3_S3_T2_NS_24const_host_device_scalarIT1_EEPKT4_lPKT5_lS7_PT6_PKS3_21rocsparse_index_base_b
		.amdhsa_group_segment_fixed_size 2048
		.amdhsa_private_segment_fixed_size 0
		.amdhsa_kernarg_size 104
		.amdhsa_user_sgpr_count 6
		.amdhsa_user_sgpr_private_segment_buffer 1
		.amdhsa_user_sgpr_dispatch_ptr 0
		.amdhsa_user_sgpr_queue_ptr 0
		.amdhsa_user_sgpr_kernarg_segment_ptr 1
		.amdhsa_user_sgpr_dispatch_id 0
		.amdhsa_user_sgpr_flat_scratch_init 0
		.amdhsa_user_sgpr_kernarg_preload_length 0
		.amdhsa_user_sgpr_kernarg_preload_offset 0
		.amdhsa_user_sgpr_private_segment_size 0
		.amdhsa_uses_dynamic_stack 0
		.amdhsa_system_sgpr_private_segment_wavefront_offset 0
		.amdhsa_system_sgpr_workgroup_id_x 1
		.amdhsa_system_sgpr_workgroup_id_y 0
		.amdhsa_system_sgpr_workgroup_id_z 0
		.amdhsa_system_sgpr_workgroup_info 0
		.amdhsa_system_vgpr_workitem_id 0
		.amdhsa_next_free_vgpr 14
		.amdhsa_next_free_sgpr 28
		.amdhsa_accum_offset 16
		.amdhsa_reserve_vcc 1
		.amdhsa_reserve_flat_scratch 0
		.amdhsa_float_round_mode_32 0
		.amdhsa_float_round_mode_16_64 0
		.amdhsa_float_denorm_mode_32 3
		.amdhsa_float_denorm_mode_16_64 3
		.amdhsa_dx10_clamp 1
		.amdhsa_ieee_mode 1
		.amdhsa_fp16_overflow 0
		.amdhsa_tg_split 0
		.amdhsa_exception_fp_ieee_invalid_op 0
		.amdhsa_exception_fp_denorm_src 0
		.amdhsa_exception_fp_ieee_div_zero 0
		.amdhsa_exception_fp_ieee_overflow 0
		.amdhsa_exception_fp_ieee_underflow 0
		.amdhsa_exception_fp_ieee_inexact 0
		.amdhsa_exception_int_div_zero 0
	.end_amdhsa_kernel
	.section	.text._ZN9rocsparseL16sddmm_ell_kernelILi512ELi8EfiiDF16_DF16_fEEv20rocsparse_operation_S1_16rocsparse_order_S2_T3_S3_S3_T2_NS_24const_host_device_scalarIT1_EEPKT4_lPKT5_lS7_PT6_PKS3_21rocsparse_index_base_b,"axG",@progbits,_ZN9rocsparseL16sddmm_ell_kernelILi512ELi8EfiiDF16_DF16_fEEv20rocsparse_operation_S1_16rocsparse_order_S2_T3_S3_S3_T2_NS_24const_host_device_scalarIT1_EEPKT4_lPKT5_lS7_PT6_PKS3_21rocsparse_index_base_b,comdat
.Lfunc_end60:
	.size	_ZN9rocsparseL16sddmm_ell_kernelILi512ELi8EfiiDF16_DF16_fEEv20rocsparse_operation_S1_16rocsparse_order_S2_T3_S3_S3_T2_NS_24const_host_device_scalarIT1_EEPKT4_lPKT5_lS7_PT6_PKS3_21rocsparse_index_base_b, .Lfunc_end60-_ZN9rocsparseL16sddmm_ell_kernelILi512ELi8EfiiDF16_DF16_fEEv20rocsparse_operation_S1_16rocsparse_order_S2_T3_S3_S3_T2_NS_24const_host_device_scalarIT1_EEPKT4_lPKT5_lS7_PT6_PKS3_21rocsparse_index_base_b
                                        ; -- End function
	.section	.AMDGPU.csdata,"",@progbits
; Kernel info:
; codeLenInByte = 1168
; NumSgprs: 32
; NumVgprs: 14
; NumAgprs: 0
; TotalNumVgprs: 14
; ScratchSize: 0
; MemoryBound: 0
; FloatMode: 240
; IeeeMode: 1
; LDSByteSize: 2048 bytes/workgroup (compile time only)
; SGPRBlocks: 3
; VGPRBlocks: 1
; NumSGPRsForWavesPerEU: 32
; NumVGPRsForWavesPerEU: 14
; AccumOffset: 16
; Occupancy: 8
; WaveLimiterHint : 0
; COMPUTE_PGM_RSRC2:SCRATCH_EN: 0
; COMPUTE_PGM_RSRC2:USER_SGPR: 6
; COMPUTE_PGM_RSRC2:TRAP_HANDLER: 0
; COMPUTE_PGM_RSRC2:TGID_X_EN: 1
; COMPUTE_PGM_RSRC2:TGID_Y_EN: 0
; COMPUTE_PGM_RSRC2:TGID_Z_EN: 0
; COMPUTE_PGM_RSRC2:TIDIG_COMP_CNT: 0
; COMPUTE_PGM_RSRC3_GFX90A:ACCUM_OFFSET: 3
; COMPUTE_PGM_RSRC3_GFX90A:TG_SPLIT: 0
	.section	.text._ZN9rocsparseL16sddmm_ell_kernelILi512ELi4EfiiDF16_DF16_fEEv20rocsparse_operation_S1_16rocsparse_order_S2_T3_S3_S3_T2_NS_24const_host_device_scalarIT1_EEPKT4_lPKT5_lS7_PT6_PKS3_21rocsparse_index_base_b,"axG",@progbits,_ZN9rocsparseL16sddmm_ell_kernelILi512ELi4EfiiDF16_DF16_fEEv20rocsparse_operation_S1_16rocsparse_order_S2_T3_S3_S3_T2_NS_24const_host_device_scalarIT1_EEPKT4_lPKT5_lS7_PT6_PKS3_21rocsparse_index_base_b,comdat
	.globl	_ZN9rocsparseL16sddmm_ell_kernelILi512ELi4EfiiDF16_DF16_fEEv20rocsparse_operation_S1_16rocsparse_order_S2_T3_S3_S3_T2_NS_24const_host_device_scalarIT1_EEPKT4_lPKT5_lS7_PT6_PKS3_21rocsparse_index_base_b ; -- Begin function _ZN9rocsparseL16sddmm_ell_kernelILi512ELi4EfiiDF16_DF16_fEEv20rocsparse_operation_S1_16rocsparse_order_S2_T3_S3_S3_T2_NS_24const_host_device_scalarIT1_EEPKT4_lPKT5_lS7_PT6_PKS3_21rocsparse_index_base_b
	.p2align	8
	.type	_ZN9rocsparseL16sddmm_ell_kernelILi512ELi4EfiiDF16_DF16_fEEv20rocsparse_operation_S1_16rocsparse_order_S2_T3_S3_S3_T2_NS_24const_host_device_scalarIT1_EEPKT4_lPKT5_lS7_PT6_PKS3_21rocsparse_index_base_b,@function
_ZN9rocsparseL16sddmm_ell_kernelILi512ELi4EfiiDF16_DF16_fEEv20rocsparse_operation_S1_16rocsparse_order_S2_T3_S3_S3_T2_NS_24const_host_device_scalarIT1_EEPKT4_lPKT5_lS7_PT6_PKS3_21rocsparse_index_base_b: ; @_ZN9rocsparseL16sddmm_ell_kernelILi512ELi4EfiiDF16_DF16_fEEv20rocsparse_operation_S1_16rocsparse_order_S2_T3_S3_S3_T2_NS_24const_host_device_scalarIT1_EEPKT4_lPKT5_lS7_PT6_PKS3_21rocsparse_index_base_b
; %bb.0:
	s_load_dwordx2 s[8:9], s[4:5], 0x60
	s_load_dwordx2 s[12:13], s[4:5], 0x20
	s_load_dwordx4 s[0:3], s[4:5], 0x40
	s_waitcnt lgkmcnt(0)
	s_bitcmp1_b32 s9, 0
	s_cselect_b64 s[14:15], -1, 0
	s_xor_b64 s[10:11], s[14:15], -1
	s_and_b64 vcc, exec, s[14:15]
	s_cbranch_vccnz .LBB61_2
; %bb.1:
	s_load_dword s12, s[12:13], 0x0
.LBB61_2:
	s_andn2_b64 vcc, exec, s[10:11]
	s_cbranch_vccnz .LBB61_4
; %bb.3:
	s_load_dword s2, s[2:3], 0x0
.LBB61_4:
	s_waitcnt lgkmcnt(0)
	v_cmp_eq_f32_e64 s[10:11], s12, 0
	v_cmp_eq_f32_e64 s[14:15], s2, 1.0
	s_and_b64 s[10:11], s[10:11], s[14:15]
	s_and_b64 vcc, exec, s[10:11]
	s_cbranch_vccnz .LBB61_33
; %bb.5:
	s_load_dwordx2 s[14:15], s[4:5], 0x18
	v_lshrrev_b32_e32 v10, 2, v0
	v_lshl_or_b32 v6, s6, 7, v10
	s_waitcnt lgkmcnt(0)
	v_cmp_gt_i32_e32 vcc, s15, v6
	s_and_saveexec_b64 s[6:7], vcc
	s_cbranch_execz .LBB61_33
; %bb.6:
	s_load_dwordx2 s[6:7], s[4:5], 0x58
	v_ashrrev_i32_e32 v7, 31, v6
	v_lshlrev_b64 v[2:3], 2, v[6:7]
	s_waitcnt lgkmcnt(0)
	v_mov_b32_e32 v1, s7
	v_add_co_u32_e32 v4, vcc, s6, v2
	v_addc_co_u32_e32 v5, vcc, v1, v3, vcc
	global_load_dword v1, v[4:5], off
	s_waitcnt vmcnt(0)
	v_subrev_u32_e32 v4, s8, v1
	v_cmp_lt_i32_e32 vcc, -1, v4
	s_and_b64 exec, exec, vcc
	s_cbranch_execz .LBB61_33
; %bb.7:
	s_load_dwordx4 s[8:11], s[4:5], 0x0
	s_load_dword s3, s[4:5], 0x10
	v_sub_u32_e32 v5, 0, v6
	v_max_i32_e32 v5, v6, v5
	s_load_dwordx2 s[18:19], s[4:5], 0x30
	s_waitcnt lgkmcnt(0)
	s_cmp_eq_u32 s10, 1
	s_cselect_b64 s[6:7], -1, 0
	s_cmpk_eq_i32 s8, 0x6f
	s_cselect_b64 s[16:17], -1, 0
	s_cmpk_lg_i32 s8, 0x6f
	s_cselect_b64 s[20:21], -1, 0
	s_abs_i32 s3, s3
	v_cvt_f32_u32_e32 v1, s3
	s_sub_i32 s8, 0, s3
	s_cmp_lg_u32 s10, 1
	v_rcp_iflag_f32_e32 v1, v1
	v_mul_f32_e32 v1, 0x4f7ffffe, v1
	v_cvt_u32_f32_e32 v1, v1
	v_mul_lo_u32 v6, s8, v1
	v_mul_hi_u32 v6, v1, v6
	v_add_u32_e32 v1, v1, v6
	v_mul_hi_u32 v1, v5, v1
	v_mul_lo_u32 v1, v1, s3
	v_sub_u32_e32 v1, v5, v1
	v_subrev_u32_e32 v5, s3, v1
	v_cmp_le_u32_e32 vcc, s3, v1
	v_cndmask_b32_e32 v1, v1, v5, vcc
	v_subrev_u32_e32 v5, s3, v1
	v_cmp_le_u32_e32 vcc, s3, v1
	v_cndmask_b32_e32 v1, v1, v5, vcc
	v_xor_b32_e32 v1, v1, v7
	v_sub_u32_e32 v8, v1, v7
	v_ashrrev_i32_e32 v9, 31, v8
	s_cbranch_scc0 .LBB61_11
; %bb.8:
	s_andn2_b64 vcc, exec, s[16:17]
	v_pk_mov_b32 v[6:7], v[8:9], v[8:9] op_sel:[0,1]
	s_cbranch_vccnz .LBB61_10
; %bb.9:
	v_mul_lo_u32 v1, v9, s18
	v_mul_lo_u32 v5, v8, s19
	v_mad_u64_u32 v[6:7], s[22:23], v8, s18, 0
	v_add3_u32 v7, v7, v5, v1
.LBB61_10:
	s_cbranch_execz .LBB61_12
	s_branch .LBB61_15
.LBB61_11:
                                        ; implicit-def: $vgpr6_vgpr7
.LBB61_12:
	s_andn2_b64 vcc, exec, s[20:21]
	s_cbranch_vccnz .LBB61_14
; %bb.13:
	v_mul_lo_u32 v1, v9, s18
	v_mul_lo_u32 v5, v8, s19
	v_mad_u64_u32 v[8:9], s[20:21], v8, s18, 0
	v_add3_u32 v9, v9, v5, v1
.LBB61_14:
	v_pk_mov_b32 v[6:7], v[8:9], v[8:9] op_sel:[0,1]
.LBB61_15:
	s_cmp_eq_u32 s11, 1
	s_cselect_b64 s[20:21], -1, 0
	s_cmpk_eq_i32 s9, 0x6f
	s_cselect_b64 s[22:23], -1, 0
	s_cmpk_lg_i32 s9, 0x6f
	s_cselect_b64 s[8:9], -1, 0
	s_cmp_lg_u32 s11, 1
	v_mov_b32_e32 v5, 0
	s_cbranch_scc0 .LBB61_19
; %bb.16:
	s_andn2_b64 vcc, exec, s[8:9]
	v_pk_mov_b32 v[8:9], v[4:5], v[4:5] op_sel:[0,1]
	s_cbranch_vccnz .LBB61_18
; %bb.17:
	v_mad_u64_u32 v[8:9], s[8:9], v4, s0, 0
	v_mov_b32_e32 v12, v9
	v_mad_u64_u32 v[12:13], s[8:9], v4, s1, v[12:13]
	v_mov_b32_e32 v9, v12
.LBB61_18:
	s_cbranch_execz .LBB61_20
	s_branch .LBB61_23
.LBB61_19:
                                        ; implicit-def: $vgpr8_vgpr9
.LBB61_20:
	s_andn2_b64 vcc, exec, s[22:23]
	s_cbranch_vccnz .LBB61_22
; %bb.21:
	v_mad_u64_u32 v[8:9], s[8:9], v4, s0, 0
	v_mov_b32_e32 v12, v9
	v_mad_u64_u32 v[4:5], s[8:9], v4, s1, v[12:13]
	v_mov_b32_e32 v9, v4
	v_pk_mov_b32 v[4:5], v[8:9], v[8:9] op_sel:[0,1]
.LBB61_22:
	v_pk_mov_b32 v[8:9], v[4:5], v[4:5] op_sel:[0,1]
.LBB61_23:
	s_load_dwordx2 s[8:9], s[4:5], 0x50
	v_and_b32_e32 v11, 3, v0
	v_cmp_gt_i32_e32 vcc, s14, v11
	v_mov_b32_e32 v12, 0
	s_and_saveexec_b64 s[10:11], vcc
	s_cbranch_execz .LBB61_27
; %bb.24:
	s_load_dwordx2 s[24:25], s[4:5], 0x28
	s_load_dwordx2 s[26:27], s[4:5], 0x38
	s_xor_b64 s[4:5], s[16:17], s[6:7]
	s_and_b64 s[4:5], s[4:5], exec
	s_cselect_b32 s5, 0, s19
	s_cselect_b32 s4, 1, s18
	s_xor_b64 s[6:7], s[22:23], s[20:21]
	s_and_b64 s[6:7], s[6:7], exec
	v_and_b32_e32 v12, 3, v0
	s_cselect_b32 s7, s1, 0
	s_cselect_b32 s6, s0, 1
	v_mad_u64_u32 v[0:1], s[0:1], s4, v12, 0
	v_mov_b32_e32 v4, v1
	v_mad_u64_u32 v[4:5], s[0:1], s5, v12, v[4:5]
	v_mov_b32_e32 v1, v4
	v_lshlrev_b64 v[0:1], 1, v[0:1]
	v_lshlrev_b64 v[4:5], 1, v[6:7]
	v_add_co_u32_e32 v0, vcc, v0, v4
	v_addc_co_u32_e32 v1, vcc, v1, v5, vcc
	s_waitcnt lgkmcnt(0)
	v_mov_b32_e32 v4, s25
	v_add_co_u32_e32 v0, vcc, s24, v0
	v_addc_co_u32_e32 v1, vcc, v4, v1, vcc
	s_lshl_b64 s[0:1], s[4:5], 3
	v_mad_u64_u32 v[4:5], s[4:5], s6, v12, 0
	v_mov_b32_e32 v6, v5
	v_mad_u64_u32 v[6:7], s[4:5], s7, v12, v[6:7]
	v_mov_b32_e32 v5, v6
	v_lshlrev_b64 v[4:5], 1, v[4:5]
	v_lshlrev_b64 v[6:7], 1, v[8:9]
	v_add_co_u32_e32 v4, vcc, v4, v6
	v_addc_co_u32_e32 v5, vcc, v5, v7, vcc
	v_mov_b32_e32 v6, s27
	v_add_co_u32_e32 v4, vcc, s26, v4
	s_lshl_b64 s[6:7], s[6:7], 3
	v_addc_co_u32_e32 v5, vcc, v6, v5, vcc
	s_mov_b64 s[4:5], 0
	v_mov_b32_e32 v12, 0
	v_mov_b32_e32 v6, s1
	;; [unrolled: 1-line block ×4, first 2 shown]
.LBB61_25:                              ; =>This Inner Loop Header: Depth=1
	global_load_ushort v9, v[0:1], off
	global_load_ushort v13, v[4:5], off
	v_add_co_u32_e32 v0, vcc, s0, v0
	v_addc_co_u32_e32 v1, vcc, v1, v6, vcc
	v_add_co_u32_e32 v4, vcc, s6, v4
	v_add_u32_e32 v8, 4, v8
	v_addc_co_u32_e32 v5, vcc, v5, v7, vcc
	v_cmp_le_i32_e32 vcc, s14, v8
	s_or_b64 s[4:5], vcc, s[4:5]
	s_waitcnt vmcnt(0)
	v_mul_f16_e32 v9, v9, v13
	v_cvt_f32_f16_e32 v9, v9
	v_add_f32_e32 v12, v12, v9
	s_andn2_b64 exec, exec, s[4:5]
	s_cbranch_execnz .LBB61_25
; %bb.26:
	s_or_b64 exec, exec, s[4:5]
.LBB61_27:
	s_or_b64 exec, exec, s[10:11]
	v_lshlrev_b32_e32 v0, 2, v11
	v_lshl_or_b32 v0, v10, 4, v0
	v_cmp_gt_u32_e32 vcc, 2, v11
	ds_write_b32 v0, v12
	s_waitcnt lgkmcnt(0)
	s_barrier
	s_and_saveexec_b64 s[0:1], vcc
	s_cbranch_execz .LBB61_29
; %bb.28:
	ds_read2_b32 v[4:5], v0 offset1:2
	s_waitcnt lgkmcnt(0)
	v_add_f32_e32 v1, v5, v4
	ds_write_b32 v0, v1
.LBB61_29:
	s_or_b64 exec, exec, s[0:1]
	v_cmp_eq_u32_e32 vcc, 0, v11
	v_lshlrev_b32_e32 v1, 4, v10
	s_waitcnt lgkmcnt(0)
	s_barrier
	s_and_saveexec_b64 s[0:1], vcc
	s_cbranch_execz .LBB61_31
; %bb.30:
	ds_read_b32 v4, v1 offset:4
	ds_read_b32 v5, v0
	s_waitcnt lgkmcnt(0)
	v_add_f32_e32 v4, v4, v5
	ds_write_b32 v0, v4
.LBB61_31:
	s_or_b64 exec, exec, s[0:1]
	s_waitcnt lgkmcnt(0)
	s_barrier
	s_and_b64 exec, exec, vcc
	s_cbranch_execz .LBB61_33
; %bb.32:
	v_mov_b32_e32 v0, s9
	v_add_co_u32_e32 v2, vcc, s8, v2
	v_addc_co_u32_e32 v3, vcc, v0, v3, vcc
	global_load_dword v0, v[2:3], off
	ds_read_b32 v1, v1
	s_waitcnt lgkmcnt(0)
	v_mul_f32_e32 v1, s12, v1
	s_waitcnt vmcnt(0)
	v_fmac_f32_e32 v1, s2, v0
	global_store_dword v[2:3], v1, off
.LBB61_33:
	s_endpgm
	.section	.rodata,"a",@progbits
	.p2align	6, 0x0
	.amdhsa_kernel _ZN9rocsparseL16sddmm_ell_kernelILi512ELi4EfiiDF16_DF16_fEEv20rocsparse_operation_S1_16rocsparse_order_S2_T3_S3_S3_T2_NS_24const_host_device_scalarIT1_EEPKT4_lPKT5_lS7_PT6_PKS3_21rocsparse_index_base_b
		.amdhsa_group_segment_fixed_size 2048
		.amdhsa_private_segment_fixed_size 0
		.amdhsa_kernarg_size 104
		.amdhsa_user_sgpr_count 6
		.amdhsa_user_sgpr_private_segment_buffer 1
		.amdhsa_user_sgpr_dispatch_ptr 0
		.amdhsa_user_sgpr_queue_ptr 0
		.amdhsa_user_sgpr_kernarg_segment_ptr 1
		.amdhsa_user_sgpr_dispatch_id 0
		.amdhsa_user_sgpr_flat_scratch_init 0
		.amdhsa_user_sgpr_kernarg_preload_length 0
		.amdhsa_user_sgpr_kernarg_preload_offset 0
		.amdhsa_user_sgpr_private_segment_size 0
		.amdhsa_uses_dynamic_stack 0
		.amdhsa_system_sgpr_private_segment_wavefront_offset 0
		.amdhsa_system_sgpr_workgroup_id_x 1
		.amdhsa_system_sgpr_workgroup_id_y 0
		.amdhsa_system_sgpr_workgroup_id_z 0
		.amdhsa_system_sgpr_workgroup_info 0
		.amdhsa_system_vgpr_workitem_id 0
		.amdhsa_next_free_vgpr 14
		.amdhsa_next_free_sgpr 28
		.amdhsa_accum_offset 16
		.amdhsa_reserve_vcc 1
		.amdhsa_reserve_flat_scratch 0
		.amdhsa_float_round_mode_32 0
		.amdhsa_float_round_mode_16_64 0
		.amdhsa_float_denorm_mode_32 3
		.amdhsa_float_denorm_mode_16_64 3
		.amdhsa_dx10_clamp 1
		.amdhsa_ieee_mode 1
		.amdhsa_fp16_overflow 0
		.amdhsa_tg_split 0
		.amdhsa_exception_fp_ieee_invalid_op 0
		.amdhsa_exception_fp_denorm_src 0
		.amdhsa_exception_fp_ieee_div_zero 0
		.amdhsa_exception_fp_ieee_overflow 0
		.amdhsa_exception_fp_ieee_underflow 0
		.amdhsa_exception_fp_ieee_inexact 0
		.amdhsa_exception_int_div_zero 0
	.end_amdhsa_kernel
	.section	.text._ZN9rocsparseL16sddmm_ell_kernelILi512ELi4EfiiDF16_DF16_fEEv20rocsparse_operation_S1_16rocsparse_order_S2_T3_S3_S3_T2_NS_24const_host_device_scalarIT1_EEPKT4_lPKT5_lS7_PT6_PKS3_21rocsparse_index_base_b,"axG",@progbits,_ZN9rocsparseL16sddmm_ell_kernelILi512ELi4EfiiDF16_DF16_fEEv20rocsparse_operation_S1_16rocsparse_order_S2_T3_S3_S3_T2_NS_24const_host_device_scalarIT1_EEPKT4_lPKT5_lS7_PT6_PKS3_21rocsparse_index_base_b,comdat
.Lfunc_end61:
	.size	_ZN9rocsparseL16sddmm_ell_kernelILi512ELi4EfiiDF16_DF16_fEEv20rocsparse_operation_S1_16rocsparse_order_S2_T3_S3_S3_T2_NS_24const_host_device_scalarIT1_EEPKT4_lPKT5_lS7_PT6_PKS3_21rocsparse_index_base_b, .Lfunc_end61-_ZN9rocsparseL16sddmm_ell_kernelILi512ELi4EfiiDF16_DF16_fEEv20rocsparse_operation_S1_16rocsparse_order_S2_T3_S3_S3_T2_NS_24const_host_device_scalarIT1_EEPKT4_lPKT5_lS7_PT6_PKS3_21rocsparse_index_base_b
                                        ; -- End function
	.section	.AMDGPU.csdata,"",@progbits
; Kernel info:
; codeLenInByte = 1120
; NumSgprs: 32
; NumVgprs: 14
; NumAgprs: 0
; TotalNumVgprs: 14
; ScratchSize: 0
; MemoryBound: 0
; FloatMode: 240
; IeeeMode: 1
; LDSByteSize: 2048 bytes/workgroup (compile time only)
; SGPRBlocks: 3
; VGPRBlocks: 1
; NumSGPRsForWavesPerEU: 32
; NumVGPRsForWavesPerEU: 14
; AccumOffset: 16
; Occupancy: 8
; WaveLimiterHint : 0
; COMPUTE_PGM_RSRC2:SCRATCH_EN: 0
; COMPUTE_PGM_RSRC2:USER_SGPR: 6
; COMPUTE_PGM_RSRC2:TRAP_HANDLER: 0
; COMPUTE_PGM_RSRC2:TGID_X_EN: 1
; COMPUTE_PGM_RSRC2:TGID_Y_EN: 0
; COMPUTE_PGM_RSRC2:TGID_Z_EN: 0
; COMPUTE_PGM_RSRC2:TIDIG_COMP_CNT: 0
; COMPUTE_PGM_RSRC3_GFX90A:ACCUM_OFFSET: 3
; COMPUTE_PGM_RSRC3_GFX90A:TG_SPLIT: 0
	.section	.text._ZN9rocsparseL16sddmm_ell_kernelILi512ELi2EfiiDF16_DF16_fEEv20rocsparse_operation_S1_16rocsparse_order_S2_T3_S3_S3_T2_NS_24const_host_device_scalarIT1_EEPKT4_lPKT5_lS7_PT6_PKS3_21rocsparse_index_base_b,"axG",@progbits,_ZN9rocsparseL16sddmm_ell_kernelILi512ELi2EfiiDF16_DF16_fEEv20rocsparse_operation_S1_16rocsparse_order_S2_T3_S3_S3_T2_NS_24const_host_device_scalarIT1_EEPKT4_lPKT5_lS7_PT6_PKS3_21rocsparse_index_base_b,comdat
	.globl	_ZN9rocsparseL16sddmm_ell_kernelILi512ELi2EfiiDF16_DF16_fEEv20rocsparse_operation_S1_16rocsparse_order_S2_T3_S3_S3_T2_NS_24const_host_device_scalarIT1_EEPKT4_lPKT5_lS7_PT6_PKS3_21rocsparse_index_base_b ; -- Begin function _ZN9rocsparseL16sddmm_ell_kernelILi512ELi2EfiiDF16_DF16_fEEv20rocsparse_operation_S1_16rocsparse_order_S2_T3_S3_S3_T2_NS_24const_host_device_scalarIT1_EEPKT4_lPKT5_lS7_PT6_PKS3_21rocsparse_index_base_b
	.p2align	8
	.type	_ZN9rocsparseL16sddmm_ell_kernelILi512ELi2EfiiDF16_DF16_fEEv20rocsparse_operation_S1_16rocsparse_order_S2_T3_S3_S3_T2_NS_24const_host_device_scalarIT1_EEPKT4_lPKT5_lS7_PT6_PKS3_21rocsparse_index_base_b,@function
_ZN9rocsparseL16sddmm_ell_kernelILi512ELi2EfiiDF16_DF16_fEEv20rocsparse_operation_S1_16rocsparse_order_S2_T3_S3_S3_T2_NS_24const_host_device_scalarIT1_EEPKT4_lPKT5_lS7_PT6_PKS3_21rocsparse_index_base_b: ; @_ZN9rocsparseL16sddmm_ell_kernelILi512ELi2EfiiDF16_DF16_fEEv20rocsparse_operation_S1_16rocsparse_order_S2_T3_S3_S3_T2_NS_24const_host_device_scalarIT1_EEPKT4_lPKT5_lS7_PT6_PKS3_21rocsparse_index_base_b
; %bb.0:
	s_load_dwordx2 s[8:9], s[4:5], 0x60
	s_load_dwordx2 s[12:13], s[4:5], 0x20
	s_load_dwordx4 s[0:3], s[4:5], 0x40
	s_waitcnt lgkmcnt(0)
	s_bitcmp1_b32 s9, 0
	s_cselect_b64 s[14:15], -1, 0
	s_xor_b64 s[10:11], s[14:15], -1
	s_and_b64 vcc, exec, s[14:15]
	s_cbranch_vccnz .LBB62_2
; %bb.1:
	s_load_dword s12, s[12:13], 0x0
.LBB62_2:
	s_andn2_b64 vcc, exec, s[10:11]
	s_cbranch_vccnz .LBB62_4
; %bb.3:
	s_load_dword s2, s[2:3], 0x0
.LBB62_4:
	s_waitcnt lgkmcnt(0)
	v_cmp_eq_f32_e64 s[10:11], s12, 0
	v_cmp_eq_f32_e64 s[14:15], s2, 1.0
	s_and_b64 s[10:11], s[10:11], s[14:15]
	s_and_b64 vcc, exec, s[10:11]
	s_cbranch_vccnz .LBB62_31
; %bb.5:
	s_load_dwordx2 s[14:15], s[4:5], 0x18
	v_lshrrev_b32_e32 v10, 1, v0
	v_lshl_or_b32 v6, s6, 8, v10
	s_waitcnt lgkmcnt(0)
	v_cmp_gt_i32_e32 vcc, s15, v6
	s_and_saveexec_b64 s[6:7], vcc
	s_cbranch_execz .LBB62_31
; %bb.6:
	s_load_dwordx2 s[6:7], s[4:5], 0x58
	v_ashrrev_i32_e32 v7, 31, v6
	v_lshlrev_b64 v[2:3], 2, v[6:7]
	s_waitcnt lgkmcnt(0)
	v_mov_b32_e32 v1, s7
	v_add_co_u32_e32 v4, vcc, s6, v2
	v_addc_co_u32_e32 v5, vcc, v1, v3, vcc
	global_load_dword v1, v[4:5], off
	s_waitcnt vmcnt(0)
	v_subrev_u32_e32 v4, s8, v1
	v_cmp_lt_i32_e32 vcc, -1, v4
	s_and_b64 exec, exec, vcc
	s_cbranch_execz .LBB62_31
; %bb.7:
	s_load_dwordx4 s[8:11], s[4:5], 0x0
	s_load_dword s3, s[4:5], 0x10
	v_sub_u32_e32 v5, 0, v6
	v_max_i32_e32 v5, v6, v5
	s_load_dwordx2 s[18:19], s[4:5], 0x30
	s_waitcnt lgkmcnt(0)
	s_cmp_eq_u32 s10, 1
	s_cselect_b64 s[6:7], -1, 0
	s_cmpk_eq_i32 s8, 0x6f
	s_cselect_b64 s[16:17], -1, 0
	s_cmpk_lg_i32 s8, 0x6f
	s_cselect_b64 s[20:21], -1, 0
	s_abs_i32 s3, s3
	v_cvt_f32_u32_e32 v1, s3
	s_sub_i32 s8, 0, s3
	s_cmp_lg_u32 s10, 1
	v_rcp_iflag_f32_e32 v1, v1
	v_mul_f32_e32 v1, 0x4f7ffffe, v1
	v_cvt_u32_f32_e32 v1, v1
	v_mul_lo_u32 v6, s8, v1
	v_mul_hi_u32 v6, v1, v6
	v_add_u32_e32 v1, v1, v6
	v_mul_hi_u32 v1, v5, v1
	v_mul_lo_u32 v1, v1, s3
	v_sub_u32_e32 v1, v5, v1
	v_subrev_u32_e32 v5, s3, v1
	v_cmp_le_u32_e32 vcc, s3, v1
	v_cndmask_b32_e32 v1, v1, v5, vcc
	v_subrev_u32_e32 v5, s3, v1
	v_cmp_le_u32_e32 vcc, s3, v1
	v_cndmask_b32_e32 v1, v1, v5, vcc
	v_xor_b32_e32 v1, v1, v7
	v_sub_u32_e32 v8, v1, v7
	v_ashrrev_i32_e32 v9, 31, v8
	s_cbranch_scc0 .LBB62_11
; %bb.8:
	s_andn2_b64 vcc, exec, s[16:17]
	v_pk_mov_b32 v[6:7], v[8:9], v[8:9] op_sel:[0,1]
	s_cbranch_vccnz .LBB62_10
; %bb.9:
	v_mul_lo_u32 v1, v9, s18
	v_mul_lo_u32 v5, v8, s19
	v_mad_u64_u32 v[6:7], s[22:23], v8, s18, 0
	v_add3_u32 v7, v7, v5, v1
.LBB62_10:
	s_cbranch_execz .LBB62_12
	s_branch .LBB62_15
.LBB62_11:
                                        ; implicit-def: $vgpr6_vgpr7
.LBB62_12:
	s_andn2_b64 vcc, exec, s[20:21]
	s_cbranch_vccnz .LBB62_14
; %bb.13:
	v_mul_lo_u32 v1, v9, s18
	v_mul_lo_u32 v5, v8, s19
	v_mad_u64_u32 v[8:9], s[20:21], v8, s18, 0
	v_add3_u32 v9, v9, v5, v1
.LBB62_14:
	v_pk_mov_b32 v[6:7], v[8:9], v[8:9] op_sel:[0,1]
.LBB62_15:
	s_cmp_eq_u32 s11, 1
	s_cselect_b64 s[20:21], -1, 0
	s_cmpk_eq_i32 s9, 0x6f
	s_cselect_b64 s[22:23], -1, 0
	s_cmpk_lg_i32 s9, 0x6f
	s_cselect_b64 s[8:9], -1, 0
	s_cmp_lg_u32 s11, 1
	v_mov_b32_e32 v5, 0
	s_cbranch_scc0 .LBB62_19
; %bb.16:
	s_andn2_b64 vcc, exec, s[8:9]
	v_pk_mov_b32 v[8:9], v[4:5], v[4:5] op_sel:[0,1]
	s_cbranch_vccnz .LBB62_18
; %bb.17:
	v_mad_u64_u32 v[8:9], s[8:9], v4, s0, 0
	v_mov_b32_e32 v12, v9
	v_mad_u64_u32 v[12:13], s[8:9], v4, s1, v[12:13]
	v_mov_b32_e32 v9, v12
.LBB62_18:
	s_cbranch_execz .LBB62_20
	s_branch .LBB62_23
.LBB62_19:
                                        ; implicit-def: $vgpr8_vgpr9
.LBB62_20:
	s_andn2_b64 vcc, exec, s[22:23]
	s_cbranch_vccnz .LBB62_22
; %bb.21:
	v_mad_u64_u32 v[8:9], s[8:9], v4, s0, 0
	v_mov_b32_e32 v12, v9
	v_mad_u64_u32 v[4:5], s[8:9], v4, s1, v[12:13]
	v_mov_b32_e32 v9, v4
	v_pk_mov_b32 v[4:5], v[8:9], v[8:9] op_sel:[0,1]
.LBB62_22:
	v_pk_mov_b32 v[8:9], v[4:5], v[4:5] op_sel:[0,1]
.LBB62_23:
	s_load_dwordx2 s[8:9], s[4:5], 0x50
	v_and_b32_e32 v11, 1, v0
	v_cmp_gt_i32_e32 vcc, s14, v11
	v_mov_b32_e32 v12, 0
	s_and_saveexec_b64 s[10:11], vcc
	s_cbranch_execz .LBB62_27
; %bb.24:
	s_load_dwordx2 s[24:25], s[4:5], 0x28
	s_load_dwordx2 s[26:27], s[4:5], 0x38
	s_xor_b64 s[4:5], s[16:17], s[6:7]
	s_and_b64 s[4:5], s[4:5], exec
	s_cselect_b32 s5, 0, s19
	s_cselect_b32 s4, 1, s18
	v_and_b32_e32 v12, 1, v0
	v_mul_lo_u32 v1, s5, v12
	v_mul_lo_u32 v0, s4, v12
	v_lshlrev_b64 v[0:1], 1, v[0:1]
	v_lshlrev_b64 v[4:5], 1, v[6:7]
	s_xor_b64 s[6:7], s[22:23], s[20:21]
	v_add_co_u32_e32 v0, vcc, v0, v4
	s_and_b64 s[6:7], s[6:7], exec
	v_addc_co_u32_e32 v1, vcc, v1, v5, vcc
	s_cselect_b32 s7, s1, 0
	s_cselect_b32 s6, s0, 1
	s_waitcnt lgkmcnt(0)
	v_mov_b32_e32 v4, s25
	v_add_co_u32_e32 v0, vcc, s24, v0
	v_addc_co_u32_e32 v1, vcc, v4, v1, vcc
	v_mul_lo_u32 v5, s7, v12
	v_mul_lo_u32 v4, s6, v12
	v_lshlrev_b64 v[4:5], 1, v[4:5]
	v_lshlrev_b64 v[6:7], 1, v[8:9]
	v_add_co_u32_e32 v4, vcc, v4, v6
	v_addc_co_u32_e32 v5, vcc, v5, v7, vcc
	s_lshl_b64 s[0:1], s[4:5], 2
	v_mov_b32_e32 v6, s27
	v_add_co_u32_e32 v4, vcc, s26, v4
	s_lshl_b64 s[6:7], s[6:7], 2
	v_addc_co_u32_e32 v5, vcc, v6, v5, vcc
	s_mov_b64 s[4:5], 0
	v_mov_b32_e32 v12, 0
	v_mov_b32_e32 v6, s1
	;; [unrolled: 1-line block ×4, first 2 shown]
.LBB62_25:                              ; =>This Inner Loop Header: Depth=1
	global_load_ushort v9, v[0:1], off
	global_load_ushort v13, v[4:5], off
	v_add_co_u32_e32 v0, vcc, s0, v0
	v_addc_co_u32_e32 v1, vcc, v1, v6, vcc
	v_add_co_u32_e32 v4, vcc, s6, v4
	v_add_u32_e32 v8, 2, v8
	v_addc_co_u32_e32 v5, vcc, v5, v7, vcc
	v_cmp_le_i32_e32 vcc, s14, v8
	s_or_b64 s[4:5], vcc, s[4:5]
	s_waitcnt vmcnt(0)
	v_mul_f16_e32 v9, v9, v13
	v_cvt_f32_f16_e32 v9, v9
	v_add_f32_e32 v12, v12, v9
	s_andn2_b64 exec, exec, s[4:5]
	s_cbranch_execnz .LBB62_25
; %bb.26:
	s_or_b64 exec, exec, s[4:5]
.LBB62_27:
	s_or_b64 exec, exec, s[10:11]
	v_lshlrev_b32_e32 v0, 3, v10
	v_lshl_or_b32 v1, v11, 2, v0
	v_cmp_eq_u32_e32 vcc, 0, v11
	ds_write_b32 v1, v12
	s_waitcnt lgkmcnt(0)
	s_barrier
	s_and_saveexec_b64 s[0:1], vcc
	s_cbranch_execz .LBB62_29
; %bb.28:
	ds_read_b32 v4, v0 offset:4
	ds_read_b32 v5, v1
	s_waitcnt lgkmcnt(0)
	v_add_f32_e32 v4, v4, v5
	ds_write_b32 v1, v4
.LBB62_29:
	s_or_b64 exec, exec, s[0:1]
	s_waitcnt lgkmcnt(0)
	s_barrier
	s_and_b64 exec, exec, vcc
	s_cbranch_execz .LBB62_31
; %bb.30:
	v_mov_b32_e32 v1, s9
	v_add_co_u32_e32 v2, vcc, s8, v2
	v_addc_co_u32_e32 v3, vcc, v1, v3, vcc
	global_load_dword v1, v[2:3], off
	ds_read_b32 v0, v0
	s_waitcnt lgkmcnt(0)
	v_mul_f32_e32 v0, s12, v0
	s_waitcnt vmcnt(0)
	v_fmac_f32_e32 v0, s2, v1
	global_store_dword v[2:3], v0, off
.LBB62_31:
	s_endpgm
	.section	.rodata,"a",@progbits
	.p2align	6, 0x0
	.amdhsa_kernel _ZN9rocsparseL16sddmm_ell_kernelILi512ELi2EfiiDF16_DF16_fEEv20rocsparse_operation_S1_16rocsparse_order_S2_T3_S3_S3_T2_NS_24const_host_device_scalarIT1_EEPKT4_lPKT5_lS7_PT6_PKS3_21rocsparse_index_base_b
		.amdhsa_group_segment_fixed_size 2048
		.amdhsa_private_segment_fixed_size 0
		.amdhsa_kernarg_size 104
		.amdhsa_user_sgpr_count 6
		.amdhsa_user_sgpr_private_segment_buffer 1
		.amdhsa_user_sgpr_dispatch_ptr 0
		.amdhsa_user_sgpr_queue_ptr 0
		.amdhsa_user_sgpr_kernarg_segment_ptr 1
		.amdhsa_user_sgpr_dispatch_id 0
		.amdhsa_user_sgpr_flat_scratch_init 0
		.amdhsa_user_sgpr_kernarg_preload_length 0
		.amdhsa_user_sgpr_kernarg_preload_offset 0
		.amdhsa_user_sgpr_private_segment_size 0
		.amdhsa_uses_dynamic_stack 0
		.amdhsa_system_sgpr_private_segment_wavefront_offset 0
		.amdhsa_system_sgpr_workgroup_id_x 1
		.amdhsa_system_sgpr_workgroup_id_y 0
		.amdhsa_system_sgpr_workgroup_id_z 0
		.amdhsa_system_sgpr_workgroup_info 0
		.amdhsa_system_vgpr_workitem_id 0
		.amdhsa_next_free_vgpr 14
		.amdhsa_next_free_sgpr 28
		.amdhsa_accum_offset 16
		.amdhsa_reserve_vcc 1
		.amdhsa_reserve_flat_scratch 0
		.amdhsa_float_round_mode_32 0
		.amdhsa_float_round_mode_16_64 0
		.amdhsa_float_denorm_mode_32 3
		.amdhsa_float_denorm_mode_16_64 3
		.amdhsa_dx10_clamp 1
		.amdhsa_ieee_mode 1
		.amdhsa_fp16_overflow 0
		.amdhsa_tg_split 0
		.amdhsa_exception_fp_ieee_invalid_op 0
		.amdhsa_exception_fp_denorm_src 0
		.amdhsa_exception_fp_ieee_div_zero 0
		.amdhsa_exception_fp_ieee_overflow 0
		.amdhsa_exception_fp_ieee_underflow 0
		.amdhsa_exception_fp_ieee_inexact 0
		.amdhsa_exception_int_div_zero 0
	.end_amdhsa_kernel
	.section	.text._ZN9rocsparseL16sddmm_ell_kernelILi512ELi2EfiiDF16_DF16_fEEv20rocsparse_operation_S1_16rocsparse_order_S2_T3_S3_S3_T2_NS_24const_host_device_scalarIT1_EEPKT4_lPKT5_lS7_PT6_PKS3_21rocsparse_index_base_b,"axG",@progbits,_ZN9rocsparseL16sddmm_ell_kernelILi512ELi2EfiiDF16_DF16_fEEv20rocsparse_operation_S1_16rocsparse_order_S2_T3_S3_S3_T2_NS_24const_host_device_scalarIT1_EEPKT4_lPKT5_lS7_PT6_PKS3_21rocsparse_index_base_b,comdat
.Lfunc_end62:
	.size	_ZN9rocsparseL16sddmm_ell_kernelILi512ELi2EfiiDF16_DF16_fEEv20rocsparse_operation_S1_16rocsparse_order_S2_T3_S3_S3_T2_NS_24const_host_device_scalarIT1_EEPKT4_lPKT5_lS7_PT6_PKS3_21rocsparse_index_base_b, .Lfunc_end62-_ZN9rocsparseL16sddmm_ell_kernelILi512ELi2EfiiDF16_DF16_fEEv20rocsparse_operation_S1_16rocsparse_order_S2_T3_S3_S3_T2_NS_24const_host_device_scalarIT1_EEPKT4_lPKT5_lS7_PT6_PKS3_21rocsparse_index_base_b
                                        ; -- End function
	.section	.AMDGPU.csdata,"",@progbits
; Kernel info:
; codeLenInByte = 1052
; NumSgprs: 32
; NumVgprs: 14
; NumAgprs: 0
; TotalNumVgprs: 14
; ScratchSize: 0
; MemoryBound: 0
; FloatMode: 240
; IeeeMode: 1
; LDSByteSize: 2048 bytes/workgroup (compile time only)
; SGPRBlocks: 3
; VGPRBlocks: 1
; NumSGPRsForWavesPerEU: 32
; NumVGPRsForWavesPerEU: 14
; AccumOffset: 16
; Occupancy: 8
; WaveLimiterHint : 0
; COMPUTE_PGM_RSRC2:SCRATCH_EN: 0
; COMPUTE_PGM_RSRC2:USER_SGPR: 6
; COMPUTE_PGM_RSRC2:TRAP_HANDLER: 0
; COMPUTE_PGM_RSRC2:TGID_X_EN: 1
; COMPUTE_PGM_RSRC2:TGID_Y_EN: 0
; COMPUTE_PGM_RSRC2:TGID_Z_EN: 0
; COMPUTE_PGM_RSRC2:TIDIG_COMP_CNT: 0
; COMPUTE_PGM_RSRC3_GFX90A:ACCUM_OFFSET: 3
; COMPUTE_PGM_RSRC3_GFX90A:TG_SPLIT: 0
	.section	.text._ZN9rocsparseL16sddmm_ell_kernelILi512ELi1EfiiDF16_DF16_fEEv20rocsparse_operation_S1_16rocsparse_order_S2_T3_S3_S3_T2_NS_24const_host_device_scalarIT1_EEPKT4_lPKT5_lS7_PT6_PKS3_21rocsparse_index_base_b,"axG",@progbits,_ZN9rocsparseL16sddmm_ell_kernelILi512ELi1EfiiDF16_DF16_fEEv20rocsparse_operation_S1_16rocsparse_order_S2_T3_S3_S3_T2_NS_24const_host_device_scalarIT1_EEPKT4_lPKT5_lS7_PT6_PKS3_21rocsparse_index_base_b,comdat
	.globl	_ZN9rocsparseL16sddmm_ell_kernelILi512ELi1EfiiDF16_DF16_fEEv20rocsparse_operation_S1_16rocsparse_order_S2_T3_S3_S3_T2_NS_24const_host_device_scalarIT1_EEPKT4_lPKT5_lS7_PT6_PKS3_21rocsparse_index_base_b ; -- Begin function _ZN9rocsparseL16sddmm_ell_kernelILi512ELi1EfiiDF16_DF16_fEEv20rocsparse_operation_S1_16rocsparse_order_S2_T3_S3_S3_T2_NS_24const_host_device_scalarIT1_EEPKT4_lPKT5_lS7_PT6_PKS3_21rocsparse_index_base_b
	.p2align	8
	.type	_ZN9rocsparseL16sddmm_ell_kernelILi512ELi1EfiiDF16_DF16_fEEv20rocsparse_operation_S1_16rocsparse_order_S2_T3_S3_S3_T2_NS_24const_host_device_scalarIT1_EEPKT4_lPKT5_lS7_PT6_PKS3_21rocsparse_index_base_b,@function
_ZN9rocsparseL16sddmm_ell_kernelILi512ELi1EfiiDF16_DF16_fEEv20rocsparse_operation_S1_16rocsparse_order_S2_T3_S3_S3_T2_NS_24const_host_device_scalarIT1_EEPKT4_lPKT5_lS7_PT6_PKS3_21rocsparse_index_base_b: ; @_ZN9rocsparseL16sddmm_ell_kernelILi512ELi1EfiiDF16_DF16_fEEv20rocsparse_operation_S1_16rocsparse_order_S2_T3_S3_S3_T2_NS_24const_host_device_scalarIT1_EEPKT4_lPKT5_lS7_PT6_PKS3_21rocsparse_index_base_b
; %bb.0:
	s_load_dwordx2 s[8:9], s[4:5], 0x60
	s_load_dwordx2 s[12:13], s[4:5], 0x20
	s_load_dwordx4 s[0:3], s[4:5], 0x40
	s_waitcnt lgkmcnt(0)
	s_bitcmp1_b32 s9, 0
	s_cselect_b64 s[14:15], -1, 0
	s_xor_b64 s[10:11], s[14:15], -1
	s_and_b64 vcc, exec, s[14:15]
	s_cbranch_vccnz .LBB63_2
; %bb.1:
	s_load_dword s12, s[12:13], 0x0
.LBB63_2:
	s_andn2_b64 vcc, exec, s[10:11]
	s_cbranch_vccnz .LBB63_4
; %bb.3:
	s_load_dword s2, s[2:3], 0x0
.LBB63_4:
	s_waitcnt lgkmcnt(0)
	v_cmp_eq_f32_e64 s[10:11], s12, 0
	v_cmp_eq_f32_e64 s[14:15], s2, 1.0
	s_and_b64 s[10:11], s[10:11], s[14:15]
	s_and_b64 vcc, exec, s[10:11]
	s_cbranch_vccnz .LBB63_28
; %bb.5:
	s_load_dwordx2 s[14:15], s[4:5], 0x18
	v_lshl_or_b32 v6, s6, 9, v0
	s_waitcnt lgkmcnt(0)
	v_cmp_gt_i32_e32 vcc, s15, v6
	s_and_saveexec_b64 s[6:7], vcc
	s_cbranch_execz .LBB63_28
; %bb.6:
	s_load_dwordx2 s[6:7], s[4:5], 0x58
	v_ashrrev_i32_e32 v7, 31, v6
	v_lshlrev_b64 v[2:3], 2, v[6:7]
	s_waitcnt lgkmcnt(0)
	v_mov_b32_e32 v1, s7
	v_add_co_u32_e32 v4, vcc, s6, v2
	v_addc_co_u32_e32 v5, vcc, v1, v3, vcc
	global_load_dword v1, v[4:5], off
	s_waitcnt vmcnt(0)
	v_subrev_u32_e32 v4, s8, v1
	v_cmp_lt_i32_e32 vcc, -1, v4
	s_and_b64 exec, exec, vcc
	s_cbranch_execz .LBB63_28
; %bb.7:
	s_load_dwordx4 s[8:11], s[4:5], 0x0
	s_load_dword s3, s[4:5], 0x10
	v_sub_u32_e32 v5, 0, v6
	v_max_i32_e32 v5, v6, v5
	s_load_dwordx2 s[18:19], s[4:5], 0x30
	s_waitcnt lgkmcnt(0)
	s_cmp_eq_u32 s10, 1
	s_cselect_b64 s[6:7], -1, 0
	s_cmpk_eq_i32 s8, 0x6f
	s_cselect_b64 s[16:17], -1, 0
	s_cmpk_lg_i32 s8, 0x6f
	s_cselect_b64 s[20:21], -1, 0
	s_abs_i32 s3, s3
	v_cvt_f32_u32_e32 v1, s3
	s_sub_i32 s8, 0, s3
	s_cmp_lg_u32 s10, 1
	v_rcp_iflag_f32_e32 v1, v1
	v_mul_f32_e32 v1, 0x4f7ffffe, v1
	v_cvt_u32_f32_e32 v1, v1
	v_mul_lo_u32 v6, s8, v1
	v_mul_hi_u32 v6, v1, v6
	v_add_u32_e32 v1, v1, v6
	v_mul_hi_u32 v1, v5, v1
	v_mul_lo_u32 v1, v1, s3
	v_sub_u32_e32 v1, v5, v1
	v_subrev_u32_e32 v5, s3, v1
	v_cmp_le_u32_e32 vcc, s3, v1
	v_cndmask_b32_e32 v1, v1, v5, vcc
	v_subrev_u32_e32 v5, s3, v1
	v_cmp_le_u32_e32 vcc, s3, v1
	v_cndmask_b32_e32 v1, v1, v5, vcc
	v_xor_b32_e32 v1, v1, v7
	v_sub_u32_e32 v8, v1, v7
	v_ashrrev_i32_e32 v9, 31, v8
	s_cbranch_scc0 .LBB63_11
; %bb.8:
	s_andn2_b64 vcc, exec, s[16:17]
	v_pk_mov_b32 v[6:7], v[8:9], v[8:9] op_sel:[0,1]
	s_cbranch_vccnz .LBB63_10
; %bb.9:
	v_mul_lo_u32 v1, v9, s18
	v_mul_lo_u32 v5, v8, s19
	v_mad_u64_u32 v[6:7], s[22:23], v8, s18, 0
	v_add3_u32 v7, v7, v5, v1
.LBB63_10:
	s_cbranch_execz .LBB63_12
	s_branch .LBB63_15
.LBB63_11:
                                        ; implicit-def: $vgpr6_vgpr7
.LBB63_12:
	s_andn2_b64 vcc, exec, s[20:21]
	s_cbranch_vccnz .LBB63_14
; %bb.13:
	v_mul_lo_u32 v1, v9, s18
	v_mul_lo_u32 v5, v8, s19
	v_mad_u64_u32 v[8:9], s[20:21], v8, s18, 0
	v_add3_u32 v9, v9, v5, v1
.LBB63_14:
	v_pk_mov_b32 v[6:7], v[8:9], v[8:9] op_sel:[0,1]
.LBB63_15:
	s_cmp_eq_u32 s11, 1
	s_cselect_b64 s[20:21], -1, 0
	s_cmpk_eq_i32 s9, 0x6f
	s_cselect_b64 s[22:23], -1, 0
	s_cmpk_lg_i32 s9, 0x6f
	s_cselect_b64 s[8:9], -1, 0
	s_cmp_lg_u32 s11, 1
	v_mov_b32_e32 v5, 0
	s_cbranch_scc0 .LBB63_19
; %bb.16:
	s_andn2_b64 vcc, exec, s[8:9]
	v_pk_mov_b32 v[8:9], v[4:5], v[4:5] op_sel:[0,1]
	s_cbranch_vccnz .LBB63_18
; %bb.17:
	v_mad_u64_u32 v[8:9], s[8:9], v4, s0, 0
	v_mov_b32_e32 v10, v9
	v_mad_u64_u32 v[10:11], s[8:9], v4, s1, v[10:11]
	v_mov_b32_e32 v9, v10
.LBB63_18:
	s_cbranch_execz .LBB63_20
	s_branch .LBB63_23
.LBB63_19:
                                        ; implicit-def: $vgpr8_vgpr9
.LBB63_20:
	s_andn2_b64 vcc, exec, s[22:23]
	s_cbranch_vccnz .LBB63_22
; %bb.21:
	v_mad_u64_u32 v[8:9], s[8:9], v4, s0, 0
	v_mov_b32_e32 v10, v9
	v_mad_u64_u32 v[4:5], s[8:9], v4, s1, v[10:11]
	v_mov_b32_e32 v9, v4
	v_pk_mov_b32 v[4:5], v[8:9], v[8:9] op_sel:[0,1]
.LBB63_22:
	v_pk_mov_b32 v[8:9], v[4:5], v[4:5] op_sel:[0,1]
.LBB63_23:
	s_load_dwordx2 s[8:9], s[4:5], 0x50
	s_cmp_lt_i32 s14, 1
	s_cbranch_scc1 .LBB63_26
; %bb.24:
	s_load_dwordx2 s[10:11], s[4:5], 0x38
	s_load_dwordx2 s[24:25], s[4:5], 0x28
	s_xor_b64 s[4:5], s[16:17], s[6:7]
	s_and_b64 s[4:5], s[4:5], exec
	v_lshlrev_b64 v[4:5], 1, v[8:9]
	s_cselect_b32 s5, 0, s19
	s_cselect_b32 s4, 1, s18
	s_xor_b64 s[6:7], s[22:23], s[20:21]
	s_waitcnt lgkmcnt(0)
	v_mov_b32_e32 v1, s11
	v_add_co_u32_e32 v4, vcc, s10, v4
	s_and_b64 s[6:7], s[6:7], exec
	v_addc_co_u32_e32 v5, vcc, v1, v5, vcc
	v_lshlrev_b64 v[6:7], 1, v[6:7]
	s_cselect_b32 s7, s1, 0
	s_cselect_b32 s6, s0, 1
	v_mov_b32_e32 v1, s25
	v_add_co_u32_e32 v6, vcc, s24, v6
	s_lshl_b64 s[0:1], s[4:5], 1
	s_lshl_b64 s[4:5], s[6:7], 1
	v_addc_co_u32_e32 v7, vcc, v1, v7, vcc
	v_mov_b32_e32 v1, 0
	v_mov_b32_e32 v8, s1
	;; [unrolled: 1-line block ×3, first 2 shown]
.LBB63_25:                              ; =>This Inner Loop Header: Depth=1
	global_load_ushort v10, v[6:7], off
	global_load_ushort v11, v[4:5], off
	v_add_co_u32_e32 v6, vcc, s0, v6
	v_addc_co_u32_e32 v7, vcc, v7, v8, vcc
	s_add_i32 s14, s14, -1
	v_add_co_u32_e32 v4, vcc, s4, v4
	v_addc_co_u32_e32 v5, vcc, v5, v9, vcc
	s_cmp_eq_u32 s14, 0
	s_waitcnt vmcnt(0)
	v_mul_f16_e32 v10, v10, v11
	v_cvt_f32_f16_e32 v10, v10
	v_add_f32_e32 v1, v1, v10
	s_cbranch_scc0 .LBB63_25
	s_branch .LBB63_27
.LBB63_26:
	v_mov_b32_e32 v1, 0
.LBB63_27:
	v_lshlrev_b32_e32 v4, 2, v0
	ds_write_b32 v4, v1
	s_waitcnt lgkmcnt(0)
	v_mov_b32_e32 v1, s9
	v_add_co_u32_e32 v0, vcc, s8, v2
	v_addc_co_u32_e32 v1, vcc, v1, v3, vcc
	s_barrier
	global_load_dword v2, v[0:1], off
	ds_read_b32 v3, v4
	s_waitcnt lgkmcnt(0)
	v_mul_f32_e32 v3, s12, v3
	s_waitcnt vmcnt(0)
	v_fmac_f32_e32 v3, s2, v2
	global_store_dword v[0:1], v3, off
.LBB63_28:
	s_endpgm
	.section	.rodata,"a",@progbits
	.p2align	6, 0x0
	.amdhsa_kernel _ZN9rocsparseL16sddmm_ell_kernelILi512ELi1EfiiDF16_DF16_fEEv20rocsparse_operation_S1_16rocsparse_order_S2_T3_S3_S3_T2_NS_24const_host_device_scalarIT1_EEPKT4_lPKT5_lS7_PT6_PKS3_21rocsparse_index_base_b
		.amdhsa_group_segment_fixed_size 2048
		.amdhsa_private_segment_fixed_size 0
		.amdhsa_kernarg_size 104
		.amdhsa_user_sgpr_count 6
		.amdhsa_user_sgpr_private_segment_buffer 1
		.amdhsa_user_sgpr_dispatch_ptr 0
		.amdhsa_user_sgpr_queue_ptr 0
		.amdhsa_user_sgpr_kernarg_segment_ptr 1
		.amdhsa_user_sgpr_dispatch_id 0
		.amdhsa_user_sgpr_flat_scratch_init 0
		.amdhsa_user_sgpr_kernarg_preload_length 0
		.amdhsa_user_sgpr_kernarg_preload_offset 0
		.amdhsa_user_sgpr_private_segment_size 0
		.amdhsa_uses_dynamic_stack 0
		.amdhsa_system_sgpr_private_segment_wavefront_offset 0
		.amdhsa_system_sgpr_workgroup_id_x 1
		.amdhsa_system_sgpr_workgroup_id_y 0
		.amdhsa_system_sgpr_workgroup_id_z 0
		.amdhsa_system_sgpr_workgroup_info 0
		.amdhsa_system_vgpr_workitem_id 0
		.amdhsa_next_free_vgpr 12
		.amdhsa_next_free_sgpr 26
		.amdhsa_accum_offset 12
		.amdhsa_reserve_vcc 1
		.amdhsa_reserve_flat_scratch 0
		.amdhsa_float_round_mode_32 0
		.amdhsa_float_round_mode_16_64 0
		.amdhsa_float_denorm_mode_32 3
		.amdhsa_float_denorm_mode_16_64 3
		.amdhsa_dx10_clamp 1
		.amdhsa_ieee_mode 1
		.amdhsa_fp16_overflow 0
		.amdhsa_tg_split 0
		.amdhsa_exception_fp_ieee_invalid_op 0
		.amdhsa_exception_fp_denorm_src 0
		.amdhsa_exception_fp_ieee_div_zero 0
		.amdhsa_exception_fp_ieee_overflow 0
		.amdhsa_exception_fp_ieee_underflow 0
		.amdhsa_exception_fp_ieee_inexact 0
		.amdhsa_exception_int_div_zero 0
	.end_amdhsa_kernel
	.section	.text._ZN9rocsparseL16sddmm_ell_kernelILi512ELi1EfiiDF16_DF16_fEEv20rocsparse_operation_S1_16rocsparse_order_S2_T3_S3_S3_T2_NS_24const_host_device_scalarIT1_EEPKT4_lPKT5_lS7_PT6_PKS3_21rocsparse_index_base_b,"axG",@progbits,_ZN9rocsparseL16sddmm_ell_kernelILi512ELi1EfiiDF16_DF16_fEEv20rocsparse_operation_S1_16rocsparse_order_S2_T3_S3_S3_T2_NS_24const_host_device_scalarIT1_EEPKT4_lPKT5_lS7_PT6_PKS3_21rocsparse_index_base_b,comdat
.Lfunc_end63:
	.size	_ZN9rocsparseL16sddmm_ell_kernelILi512ELi1EfiiDF16_DF16_fEEv20rocsparse_operation_S1_16rocsparse_order_S2_T3_S3_S3_T2_NS_24const_host_device_scalarIT1_EEPKT4_lPKT5_lS7_PT6_PKS3_21rocsparse_index_base_b, .Lfunc_end63-_ZN9rocsparseL16sddmm_ell_kernelILi512ELi1EfiiDF16_DF16_fEEv20rocsparse_operation_S1_16rocsparse_order_S2_T3_S3_S3_T2_NS_24const_host_device_scalarIT1_EEPKT4_lPKT5_lS7_PT6_PKS3_21rocsparse_index_base_b
                                        ; -- End function
	.section	.AMDGPU.csdata,"",@progbits
; Kernel info:
; codeLenInByte = 880
; NumSgprs: 30
; NumVgprs: 12
; NumAgprs: 0
; TotalNumVgprs: 12
; ScratchSize: 0
; MemoryBound: 0
; FloatMode: 240
; IeeeMode: 1
; LDSByteSize: 2048 bytes/workgroup (compile time only)
; SGPRBlocks: 3
; VGPRBlocks: 1
; NumSGPRsForWavesPerEU: 30
; NumVGPRsForWavesPerEU: 12
; AccumOffset: 12
; Occupancy: 8
; WaveLimiterHint : 0
; COMPUTE_PGM_RSRC2:SCRATCH_EN: 0
; COMPUTE_PGM_RSRC2:USER_SGPR: 6
; COMPUTE_PGM_RSRC2:TRAP_HANDLER: 0
; COMPUTE_PGM_RSRC2:TGID_X_EN: 1
; COMPUTE_PGM_RSRC2:TGID_Y_EN: 0
; COMPUTE_PGM_RSRC2:TGID_Z_EN: 0
; COMPUTE_PGM_RSRC2:TIDIG_COMP_CNT: 0
; COMPUTE_PGM_RSRC3_GFX90A:ACCUM_OFFSET: 2
; COMPUTE_PGM_RSRC3_GFX90A:TG_SPLIT: 0
	.section	.text._ZN9rocsparseL16sddmm_ell_kernelILi512ELi8EfllDF16_DF16_fEEv20rocsparse_operation_S1_16rocsparse_order_S2_T3_S3_S3_T2_NS_24const_host_device_scalarIT1_EEPKT4_lPKT5_lS7_PT6_PKS3_21rocsparse_index_base_b,"axG",@progbits,_ZN9rocsparseL16sddmm_ell_kernelILi512ELi8EfllDF16_DF16_fEEv20rocsparse_operation_S1_16rocsparse_order_S2_T3_S3_S3_T2_NS_24const_host_device_scalarIT1_EEPKT4_lPKT5_lS7_PT6_PKS3_21rocsparse_index_base_b,comdat
	.globl	_ZN9rocsparseL16sddmm_ell_kernelILi512ELi8EfllDF16_DF16_fEEv20rocsparse_operation_S1_16rocsparse_order_S2_T3_S3_S3_T2_NS_24const_host_device_scalarIT1_EEPKT4_lPKT5_lS7_PT6_PKS3_21rocsparse_index_base_b ; -- Begin function _ZN9rocsparseL16sddmm_ell_kernelILi512ELi8EfllDF16_DF16_fEEv20rocsparse_operation_S1_16rocsparse_order_S2_T3_S3_S3_T2_NS_24const_host_device_scalarIT1_EEPKT4_lPKT5_lS7_PT6_PKS3_21rocsparse_index_base_b
	.p2align	8
	.type	_ZN9rocsparseL16sddmm_ell_kernelILi512ELi8EfllDF16_DF16_fEEv20rocsparse_operation_S1_16rocsparse_order_S2_T3_S3_S3_T2_NS_24const_host_device_scalarIT1_EEPKT4_lPKT5_lS7_PT6_PKS3_21rocsparse_index_base_b,@function
_ZN9rocsparseL16sddmm_ell_kernelILi512ELi8EfllDF16_DF16_fEEv20rocsparse_operation_S1_16rocsparse_order_S2_T3_S3_S3_T2_NS_24const_host_device_scalarIT1_EEPKT4_lPKT5_lS7_PT6_PKS3_21rocsparse_index_base_b: ; @_ZN9rocsparseL16sddmm_ell_kernelILi512ELi8EfllDF16_DF16_fEEv20rocsparse_operation_S1_16rocsparse_order_S2_T3_S3_S3_T2_NS_24const_host_device_scalarIT1_EEPKT4_lPKT5_lS7_PT6_PKS3_21rocsparse_index_base_b
; %bb.0:
	s_load_dwordx2 s[18:19], s[4:5], 0x70
	s_load_dwordx2 s[16:17], s[4:5], 0x30
	s_load_dwordx4 s[8:11], s[4:5], 0x50
	s_waitcnt lgkmcnt(0)
	s_bitcmp1_b32 s19, 0
	s_cselect_b64 s[2:3], -1, 0
	s_xor_b64 s[0:1], s[2:3], -1
	s_and_b64 vcc, exec, s[2:3]
	s_cbranch_vccnz .LBB64_2
; %bb.1:
	s_load_dword s16, s[16:17], 0x0
.LBB64_2:
	s_andn2_b64 vcc, exec, s[0:1]
	s_cbranch_vccnz .LBB64_4
; %bb.3:
	s_load_dword s10, s[10:11], 0x0
.LBB64_4:
	s_waitcnt lgkmcnt(0)
	v_cmp_eq_f32_e64 s[0:1], s16, 0
	v_cmp_eq_f32_e64 s[2:3], s10, 1.0
	s_and_b64 s[0:1], s[0:1], s[2:3]
	s_and_b64 vcc, exec, s[0:1]
	s_cbranch_vccnz .LBB64_39
; %bb.5:
	s_load_dwordx4 s[12:15], s[4:5], 0x20
	v_lshrrev_b32_e32 v10, 3, v0
	v_lshl_or_b32 v2, s6, 6, v10
	v_mov_b32_e32 v3, 0
	s_waitcnt lgkmcnt(0)
	v_cmp_gt_i64_e32 vcc, s[14:15], v[2:3]
	s_and_saveexec_b64 s[0:1], vcc
	s_cbranch_execz .LBB64_39
; %bb.6:
	s_load_dwordx2 s[14:15], s[4:5], 0x10
	s_load_dwordx2 s[6:7], s[4:5], 0x68
	s_mov_b32 s0, 0
                                        ; implicit-def: $vgpr8_vgpr9
	s_waitcnt lgkmcnt(0)
	s_mov_b32 s1, s15
	s_cmp_lg_u64 s[0:1], 0
	s_cselect_b64 s[0:1], -1, 0
	s_and_saveexec_b64 s[2:3], s[0:1]
	s_xor_b64 s[20:21], exec, s[2:3]
	s_cbranch_execz .LBB64_8
; %bb.7:
	s_ashr_i32 s0, s15, 31
	s_add_u32 s2, s14, s0
	s_mov_b32 s1, s0
	s_addc_u32 s3, s15, s0
	s_xor_b64 s[22:23], s[2:3], s[0:1]
	v_cvt_f32_u32_e32 v1, s22
	v_cvt_f32_u32_e32 v4, s23
	s_sub_u32 s0, 0, s22
	s_subb_u32 s1, 0, s23
	v_madmk_f32 v1, v4, 0x4f800000, v1
	v_rcp_f32_e32 v1, v1
	v_mul_f32_e32 v1, 0x5f7ffffc, v1
	v_mul_f32_e32 v4, 0x2f800000, v1
	v_trunc_f32_e32 v4, v4
	v_madmk_f32 v1, v4, 0xcf800000, v1
	v_cvt_u32_f32_e32 v4, v4
	v_cvt_u32_f32_e32 v1, v1
	v_mul_lo_u32 v5, s0, v4
	v_mul_hi_u32 v7, s0, v1
	v_mul_lo_u32 v6, s1, v1
	v_add_u32_e32 v5, v7, v5
	v_mul_lo_u32 v8, s0, v1
	v_add_u32_e32 v5, v5, v6
	v_mul_lo_u32 v7, v1, v5
	v_mul_hi_u32 v9, v1, v8
	v_mul_hi_u32 v6, v1, v5
	v_add_co_u32_e32 v7, vcc, v9, v7
	v_addc_co_u32_e32 v6, vcc, 0, v6, vcc
	v_mul_hi_u32 v11, v4, v8
	v_mul_lo_u32 v8, v4, v8
	v_add_co_u32_e32 v7, vcc, v7, v8
	v_mul_hi_u32 v9, v4, v5
	v_addc_co_u32_e32 v6, vcc, v6, v11, vcc
	v_addc_co_u32_e32 v7, vcc, 0, v9, vcc
	v_mul_lo_u32 v5, v4, v5
	v_add_co_u32_e32 v5, vcc, v6, v5
	v_addc_co_u32_e32 v6, vcc, 0, v7, vcc
	v_add_co_u32_e32 v1, vcc, v1, v5
	v_addc_co_u32_e32 v4, vcc, v4, v6, vcc
	v_mul_lo_u32 v5, s0, v4
	v_mul_hi_u32 v6, s0, v1
	v_add_u32_e32 v5, v6, v5
	v_mul_lo_u32 v6, s1, v1
	v_add_u32_e32 v5, v5, v6
	v_mul_lo_u32 v7, s0, v1
	v_mul_hi_u32 v8, v4, v7
	v_mul_lo_u32 v9, v4, v7
	v_mul_lo_u32 v12, v1, v5
	v_mul_hi_u32 v7, v1, v7
	v_mul_hi_u32 v11, v1, v5
	v_add_co_u32_e32 v7, vcc, v7, v12
	v_addc_co_u32_e32 v11, vcc, 0, v11, vcc
	v_add_co_u32_e32 v7, vcc, v7, v9
	v_mul_hi_u32 v6, v4, v5
	v_addc_co_u32_e32 v7, vcc, v11, v8, vcc
	v_addc_co_u32_e32 v6, vcc, 0, v6, vcc
	v_mul_lo_u32 v5, v4, v5
	v_add_co_u32_e32 v5, vcc, v7, v5
	v_addc_co_u32_e32 v6, vcc, 0, v6, vcc
	v_add_co_u32_e32 v1, vcc, v1, v5
	v_addc_co_u32_e32 v6, vcc, v4, v6, vcc
	v_mad_u64_u32 v[4:5], s[0:1], v2, v6, 0
	v_mul_hi_u32 v7, v2, v1
	v_add_co_u32_e32 v8, vcc, v7, v4
	v_addc_co_u32_e32 v9, vcc, 0, v5, vcc
	v_mad_u64_u32 v[4:5], s[0:1], 0, v6, 0
	v_mad_u64_u32 v[6:7], s[0:1], 0, v1, 0
	v_add_co_u32_e32 v1, vcc, v8, v6
	v_addc_co_u32_e32 v1, vcc, v9, v7, vcc
	v_addc_co_u32_e32 v5, vcc, 0, v5, vcc
	v_add_co_u32_e32 v1, vcc, v1, v4
	v_addc_co_u32_e32 v4, vcc, 0, v5, vcc
	v_mul_lo_u32 v6, s23, v1
	v_mul_lo_u32 v7, s22, v4
	v_mad_u64_u32 v[4:5], s[0:1], s22, v1, 0
	v_add3_u32 v1, v5, v7, v6
	v_sub_u32_e32 v5, 0, v1
	v_mov_b32_e32 v6, s23
	v_sub_co_u32_e32 v4, vcc, v2, v4
	v_subb_co_u32_e64 v5, s[0:1], v5, v6, vcc
	v_subrev_co_u32_e64 v7, s[0:1], s22, v4
	v_subbrev_co_u32_e64 v8, s[2:3], 0, v5, s[0:1]
	v_cmp_le_u32_e64 s[2:3], s23, v8
	v_cndmask_b32_e64 v9, 0, -1, s[2:3]
	v_cmp_le_u32_e64 s[2:3], s22, v7
	v_subb_co_u32_e64 v5, s[0:1], v5, v6, s[0:1]
	v_cndmask_b32_e64 v11, 0, -1, s[2:3]
	v_cmp_eq_u32_e64 s[2:3], s23, v8
	v_subrev_co_u32_e64 v6, s[0:1], s22, v7
	v_cndmask_b32_e64 v9, v9, v11, s[2:3]
	v_subbrev_co_u32_e64 v5, s[0:1], 0, v5, s[0:1]
	v_subb_co_u32_e32 v1, vcc, 0, v1, vcc
	v_cmp_ne_u32_e64 s[0:1], 0, v9
	v_cmp_le_u32_e32 vcc, s23, v1
	v_cndmask_b32_e64 v5, v8, v5, s[0:1]
	v_cndmask_b32_e64 v8, 0, -1, vcc
	v_cmp_le_u32_e32 vcc, s22, v4
	v_cndmask_b32_e64 v9, 0, -1, vcc
	v_cmp_eq_u32_e32 vcc, s23, v1
	v_cndmask_b32_e32 v8, v8, v9, vcc
	v_cmp_ne_u32_e32 vcc, 0, v8
	v_cndmask_b32_e32 v1, v1, v5, vcc
	v_cndmask_b32_e64 v5, v7, v6, s[0:1]
	v_cndmask_b32_e32 v4, v4, v5, vcc
	v_subrev_co_u32_e32 v8, vcc, 0, v4
	v_subbrev_co_u32_e32 v9, vcc, 0, v1, vcc
.LBB64_8:
	s_andn2_saveexec_b64 s[0:1], s[20:21]
	s_cbranch_execz .LBB64_10
; %bb.9:
	v_cvt_f32_u32_e32 v1, s14
	s_sub_i32 s2, 0, s14
	v_mov_b32_e32 v9, 0
	v_rcp_iflag_f32_e32 v1, v1
	v_mul_f32_e32 v1, 0x4f7ffffe, v1
	v_cvt_u32_f32_e32 v1, v1
	v_mul_lo_u32 v4, s2, v1
	v_mul_hi_u32 v4, v1, v4
	v_add_u32_e32 v1, v1, v4
	v_mul_hi_u32 v1, v2, v1
	v_mul_lo_u32 v1, v1, s14
	v_sub_u32_e32 v1, v2, v1
	v_subrev_u32_e32 v4, s14, v1
	v_cmp_le_u32_e32 vcc, s14, v1
	v_cndmask_b32_e32 v1, v1, v4, vcc
	v_subrev_u32_e32 v4, s14, v1
	v_cmp_le_u32_e32 vcc, s14, v1
	v_cndmask_b32_e32 v8, v1, v4, vcc
.LBB64_10:
	s_or_b64 exec, exec, s[0:1]
	v_lshlrev_b64 v[4:5], 3, v[2:3]
	v_mov_b32_e32 v1, s7
	v_add_co_u32_e32 v4, vcc, s6, v4
	v_addc_co_u32_e32 v5, vcc, v1, v5, vcc
	global_load_dwordx2 v[4:5], v[4:5], off
	s_mov_b64 s[22:23], -1
	s_waitcnt vmcnt(0)
	v_subrev_co_u32_e32 v6, vcc, s18, v4
	v_subbrev_co_u32_e32 v7, vcc, 0, v5, vcc
	v_cmp_lt_i64_e32 vcc, -1, v[6:7]
	s_and_b64 exec, exec, vcc
	s_cbranch_execz .LBB64_39
; %bb.11:
	s_load_dwordx4 s[0:3], s[4:5], 0x0
	s_load_dwordx2 s[6:7], s[4:5], 0x40
	s_waitcnt lgkmcnt(0)
	s_cmp_eq_u32 s2, 1
	s_cselect_b64 s[14:15], -1, 0
	s_cmpk_eq_i32 s0, 0x6f
	s_cselect_b64 s[18:19], -1, 0
	s_cmpk_lg_i32 s0, 0x6f
	s_cselect_b64 s[20:21], -1, 0
	s_cmp_lg_u32 s2, 1
	s_cbranch_scc0 .LBB64_15
; %bb.12:
	s_andn2_b64 vcc, exec, s[18:19]
	v_pk_mov_b32 v[4:5], v[8:9], v[8:9] op_sel:[0,1]
	s_cbranch_vccnz .LBB64_14
; %bb.13:
	v_mul_lo_u32 v1, v9, s6
	v_mul_lo_u32 v11, v8, s7
	v_mad_u64_u32 v[4:5], s[22:23], v8, s6, 0
	v_add3_u32 v5, v5, v11, v1
.LBB64_14:
	s_cbranch_execz .LBB64_16
	s_branch .LBB64_19
.LBB64_15:
                                        ; implicit-def: $vgpr4_vgpr5
	s_andn2_b64 vcc, exec, s[22:23]
	s_cbranch_vccnz .LBB64_19
.LBB64_16:
	s_andn2_b64 vcc, exec, s[20:21]
	s_cbranch_vccnz .LBB64_18
; %bb.17:
	v_mul_lo_u32 v1, v9, s6
	v_mul_lo_u32 v4, v8, s7
	v_mad_u64_u32 v[8:9], s[20:21], v8, s6, 0
	v_add3_u32 v9, v9, v4, v1
.LBB64_18:
	v_pk_mov_b32 v[4:5], v[8:9], v[8:9] op_sel:[0,1]
.LBB64_19:
	s_cmp_eq_u32 s3, 1
	s_cselect_b64 s[20:21], -1, 0
	s_cmpk_eq_i32 s1, 0x6f
	s_cselect_b64 s[22:23], -1, 0
	s_cmpk_lg_i32 s1, 0x6f
	s_cselect_b64 s[0:1], -1, 0
	s_cmp_lg_u32 s3, 1
	s_cbranch_scc0 .LBB64_23
; %bb.20:
	s_andn2_b64 vcc, exec, s[0:1]
	v_pk_mov_b32 v[8:9], v[6:7], v[6:7] op_sel:[0,1]
	s_cbranch_vccnz .LBB64_22
; %bb.21:
	v_mul_lo_u32 v1, v7, s8
	v_mul_lo_u32 v11, v6, s9
	v_mad_u64_u32 v[8:9], s[0:1], v6, s8, 0
	v_add3_u32 v9, v9, v11, v1
.LBB64_22:
	s_cbranch_execz .LBB64_24
	s_branch .LBB64_27
.LBB64_23:
                                        ; implicit-def: $vgpr8_vgpr9
.LBB64_24:
	s_andn2_b64 vcc, exec, s[22:23]
	s_cbranch_vccnz .LBB64_26
; %bb.25:
	v_mul_lo_u32 v1, v7, s8
	v_mul_lo_u32 v8, v6, s9
	v_mad_u64_u32 v[6:7], s[0:1], v6, s8, 0
	v_add3_u32 v7, v7, v8, v1
.LBB64_26:
	v_pk_mov_b32 v[8:9], v[6:7], v[6:7] op_sel:[0,1]
.LBB64_27:
	s_load_dwordx2 s[0:1], s[4:5], 0x60
	v_and_b32_e32 v0, 7, v0
	v_mov_b32_e32 v1, 0
	v_cmp_gt_i64_e32 vcc, s[12:13], v[0:1]
	s_and_saveexec_b64 s[2:3], vcc
	s_cbranch_execz .LBB64_31
; %bb.28:
	s_load_dwordx2 s[24:25], s[4:5], 0x38
	s_load_dwordx2 s[26:27], s[4:5], 0x48
	s_xor_b64 s[4:5], s[18:19], s[14:15]
	s_and_b64 s[4:5], s[4:5], exec
	s_cselect_b32 s7, 0, s7
	s_cselect_b32 s6, 1, s6
	s_xor_b64 s[4:5], s[22:23], s[20:21]
	s_and_b64 s[4:5], s[4:5], exec
	s_cselect_b32 s4, s8, 1
	s_cselect_b32 s5, s9, 0
	v_mad_u64_u32 v[6:7], s[8:9], s4, v0, 0
	v_mov_b32_e32 v12, v7
	v_mad_u64_u32 v[12:13], s[8:9], s5, v0, v[12:13]
	v_mov_b32_e32 v7, v12
	v_lshlrev_b64 v[6:7], 1, v[6:7]
	v_lshlrev_b64 v[8:9], 1, v[8:9]
	v_add_co_u32_e32 v6, vcc, v6, v8
	v_addc_co_u32_e32 v7, vcc, v7, v9, vcc
	s_waitcnt lgkmcnt(0)
	v_mov_b32_e32 v8, s27
	v_add_co_u32_e32 v6, vcc, s26, v6
	v_addc_co_u32_e32 v7, vcc, v8, v7, vcc
	v_mad_u64_u32 v[8:9], s[8:9], s6, v0, 0
	v_mov_b32_e32 v12, v9
	v_mad_u64_u32 v[12:13], s[8:9], s7, v0, v[12:13]
	v_mov_b32_e32 v9, v12
	v_lshlrev_b64 v[8:9], 1, v[8:9]
	v_lshlrev_b64 v[4:5], 1, v[4:5]
	v_add_co_u32_e32 v4, vcc, v8, v4
	v_addc_co_u32_e32 v5, vcc, v9, v5, vcc
	s_lshl_b64 s[4:5], s[4:5], 4
	v_mov_b32_e32 v8, s25
	v_add_co_u32_e32 v4, vcc, s24, v4
	s_lshl_b64 s[8:9], s[6:7], 4
	v_mov_b32_e32 v13, 0
	v_addc_co_u32_e32 v5, vcc, v8, v5, vcc
	s_mov_b64 s[6:7], 0
	v_mov_b32_e32 v11, s5
	v_mov_b32_e32 v12, s9
	v_pk_mov_b32 v[8:9], v[0:1], v[0:1] op_sel:[0,1]
	v_mov_b32_e32 v1, v13
.LBB64_29:                              ; =>This Inner Loop Header: Depth=1
	global_load_ushort v13, v[4:5], off
	global_load_ushort v14, v[6:7], off
	v_add_co_u32_e32 v8, vcc, 8, v8
	v_addc_co_u32_e32 v9, vcc, 0, v9, vcc
	v_add_co_u32_e32 v6, vcc, s4, v6
	v_addc_co_u32_e32 v7, vcc, v7, v11, vcc
	;; [unrolled: 2-line block ×3, first 2 shown]
	v_cmp_le_i64_e32 vcc, s[12:13], v[8:9]
	s_or_b64 s[6:7], vcc, s[6:7]
	s_waitcnt vmcnt(0)
	v_mul_f16_e32 v13, v13, v14
	v_cvt_f32_f16_e32 v13, v13
	v_add_f32_e32 v1, v1, v13
	s_andn2_b64 exec, exec, s[6:7]
	s_cbranch_execnz .LBB64_29
; %bb.30:
	s_or_b64 exec, exec, s[6:7]
.LBB64_31:
	s_or_b64 exec, exec, s[2:3]
	v_lshlrev_b32_e32 v4, 2, v0
	v_lshl_or_b32 v4, v10, 5, v4
	v_cmp_gt_u32_e32 vcc, 4, v0
	ds_write_b32 v4, v1
	s_waitcnt lgkmcnt(0)
	s_barrier
	s_and_saveexec_b64 s[2:3], vcc
	s_cbranch_execz .LBB64_33
; %bb.32:
	ds_read2_b32 v[6:7], v4 offset1:4
	s_waitcnt lgkmcnt(0)
	v_add_f32_e32 v1, v7, v6
	ds_write_b32 v4, v1
.LBB64_33:
	s_or_b64 exec, exec, s[2:3]
	v_cmp_gt_u32_e32 vcc, 2, v0
	s_waitcnt lgkmcnt(0)
	s_barrier
	s_and_saveexec_b64 s[2:3], vcc
	s_cbranch_execz .LBB64_35
; %bb.34:
	ds_read2_b32 v[6:7], v4 offset1:2
	s_waitcnt lgkmcnt(0)
	v_add_f32_e32 v1, v7, v6
	ds_write_b32 v4, v1
.LBB64_35:
	s_or_b64 exec, exec, s[2:3]
	v_cmp_eq_u32_e32 vcc, 0, v0
	v_lshlrev_b32_e32 v0, 5, v10
	s_waitcnt lgkmcnt(0)
	s_barrier
	s_and_saveexec_b64 s[2:3], vcc
	s_cbranch_execz .LBB64_37
; %bb.36:
	ds_read_b32 v1, v0 offset:4
	ds_read_b32 v5, v4
	s_waitcnt lgkmcnt(0)
	v_add_f32_e32 v1, v1, v5
	ds_write_b32 v4, v1
.LBB64_37:
	s_or_b64 exec, exec, s[2:3]
	s_waitcnt lgkmcnt(0)
	s_barrier
	s_and_b64 exec, exec, vcc
	s_cbranch_execz .LBB64_39
; %bb.38:
	v_lshlrev_b64 v[2:3], 2, v[2:3]
	v_mov_b32_e32 v1, s1
	v_add_co_u32_e32 v2, vcc, s0, v2
	v_addc_co_u32_e32 v3, vcc, v1, v3, vcc
	global_load_dword v1, v[2:3], off
	ds_read_b32 v0, v0
	s_waitcnt lgkmcnt(0)
	v_mul_f32_e32 v0, s16, v0
	s_waitcnt vmcnt(0)
	v_fmac_f32_e32 v0, s10, v1
	global_store_dword v[2:3], v0, off
.LBB64_39:
	s_endpgm
	.section	.rodata,"a",@progbits
	.p2align	6, 0x0
	.amdhsa_kernel _ZN9rocsparseL16sddmm_ell_kernelILi512ELi8EfllDF16_DF16_fEEv20rocsparse_operation_S1_16rocsparse_order_S2_T3_S3_S3_T2_NS_24const_host_device_scalarIT1_EEPKT4_lPKT5_lS7_PT6_PKS3_21rocsparse_index_base_b
		.amdhsa_group_segment_fixed_size 2048
		.amdhsa_private_segment_fixed_size 0
		.amdhsa_kernarg_size 120
		.amdhsa_user_sgpr_count 6
		.amdhsa_user_sgpr_private_segment_buffer 1
		.amdhsa_user_sgpr_dispatch_ptr 0
		.amdhsa_user_sgpr_queue_ptr 0
		.amdhsa_user_sgpr_kernarg_segment_ptr 1
		.amdhsa_user_sgpr_dispatch_id 0
		.amdhsa_user_sgpr_flat_scratch_init 0
		.amdhsa_user_sgpr_kernarg_preload_length 0
		.amdhsa_user_sgpr_kernarg_preload_offset 0
		.amdhsa_user_sgpr_private_segment_size 0
		.amdhsa_uses_dynamic_stack 0
		.amdhsa_system_sgpr_private_segment_wavefront_offset 0
		.amdhsa_system_sgpr_workgroup_id_x 1
		.amdhsa_system_sgpr_workgroup_id_y 0
		.amdhsa_system_sgpr_workgroup_id_z 0
		.amdhsa_system_sgpr_workgroup_info 0
		.amdhsa_system_vgpr_workitem_id 0
		.amdhsa_next_free_vgpr 15
		.amdhsa_next_free_sgpr 28
		.amdhsa_accum_offset 16
		.amdhsa_reserve_vcc 1
		.amdhsa_reserve_flat_scratch 0
		.amdhsa_float_round_mode_32 0
		.amdhsa_float_round_mode_16_64 0
		.amdhsa_float_denorm_mode_32 3
		.amdhsa_float_denorm_mode_16_64 3
		.amdhsa_dx10_clamp 1
		.amdhsa_ieee_mode 1
		.amdhsa_fp16_overflow 0
		.amdhsa_tg_split 0
		.amdhsa_exception_fp_ieee_invalid_op 0
		.amdhsa_exception_fp_denorm_src 0
		.amdhsa_exception_fp_ieee_div_zero 0
		.amdhsa_exception_fp_ieee_overflow 0
		.amdhsa_exception_fp_ieee_underflow 0
		.amdhsa_exception_fp_ieee_inexact 0
		.amdhsa_exception_int_div_zero 0
	.end_amdhsa_kernel
	.section	.text._ZN9rocsparseL16sddmm_ell_kernelILi512ELi8EfllDF16_DF16_fEEv20rocsparse_operation_S1_16rocsparse_order_S2_T3_S3_S3_T2_NS_24const_host_device_scalarIT1_EEPKT4_lPKT5_lS7_PT6_PKS3_21rocsparse_index_base_b,"axG",@progbits,_ZN9rocsparseL16sddmm_ell_kernelILi512ELi8EfllDF16_DF16_fEEv20rocsparse_operation_S1_16rocsparse_order_S2_T3_S3_S3_T2_NS_24const_host_device_scalarIT1_EEPKT4_lPKT5_lS7_PT6_PKS3_21rocsparse_index_base_b,comdat
.Lfunc_end64:
	.size	_ZN9rocsparseL16sddmm_ell_kernelILi512ELi8EfllDF16_DF16_fEEv20rocsparse_operation_S1_16rocsparse_order_S2_T3_S3_S3_T2_NS_24const_host_device_scalarIT1_EEPKT4_lPKT5_lS7_PT6_PKS3_21rocsparse_index_base_b, .Lfunc_end64-_ZN9rocsparseL16sddmm_ell_kernelILi512ELi8EfllDF16_DF16_fEEv20rocsparse_operation_S1_16rocsparse_order_S2_T3_S3_S3_T2_NS_24const_host_device_scalarIT1_EEPKT4_lPKT5_lS7_PT6_PKS3_21rocsparse_index_base_b
                                        ; -- End function
	.section	.AMDGPU.csdata,"",@progbits
; Kernel info:
; codeLenInByte = 1860
; NumSgprs: 32
; NumVgprs: 15
; NumAgprs: 0
; TotalNumVgprs: 15
; ScratchSize: 0
; MemoryBound: 0
; FloatMode: 240
; IeeeMode: 1
; LDSByteSize: 2048 bytes/workgroup (compile time only)
; SGPRBlocks: 3
; VGPRBlocks: 1
; NumSGPRsForWavesPerEU: 32
; NumVGPRsForWavesPerEU: 15
; AccumOffset: 16
; Occupancy: 8
; WaveLimiterHint : 0
; COMPUTE_PGM_RSRC2:SCRATCH_EN: 0
; COMPUTE_PGM_RSRC2:USER_SGPR: 6
; COMPUTE_PGM_RSRC2:TRAP_HANDLER: 0
; COMPUTE_PGM_RSRC2:TGID_X_EN: 1
; COMPUTE_PGM_RSRC2:TGID_Y_EN: 0
; COMPUTE_PGM_RSRC2:TGID_Z_EN: 0
; COMPUTE_PGM_RSRC2:TIDIG_COMP_CNT: 0
; COMPUTE_PGM_RSRC3_GFX90A:ACCUM_OFFSET: 3
; COMPUTE_PGM_RSRC3_GFX90A:TG_SPLIT: 0
	.section	.text._ZN9rocsparseL16sddmm_ell_kernelILi512ELi4EfllDF16_DF16_fEEv20rocsparse_operation_S1_16rocsparse_order_S2_T3_S3_S3_T2_NS_24const_host_device_scalarIT1_EEPKT4_lPKT5_lS7_PT6_PKS3_21rocsparse_index_base_b,"axG",@progbits,_ZN9rocsparseL16sddmm_ell_kernelILi512ELi4EfllDF16_DF16_fEEv20rocsparse_operation_S1_16rocsparse_order_S2_T3_S3_S3_T2_NS_24const_host_device_scalarIT1_EEPKT4_lPKT5_lS7_PT6_PKS3_21rocsparse_index_base_b,comdat
	.globl	_ZN9rocsparseL16sddmm_ell_kernelILi512ELi4EfllDF16_DF16_fEEv20rocsparse_operation_S1_16rocsparse_order_S2_T3_S3_S3_T2_NS_24const_host_device_scalarIT1_EEPKT4_lPKT5_lS7_PT6_PKS3_21rocsparse_index_base_b ; -- Begin function _ZN9rocsparseL16sddmm_ell_kernelILi512ELi4EfllDF16_DF16_fEEv20rocsparse_operation_S1_16rocsparse_order_S2_T3_S3_S3_T2_NS_24const_host_device_scalarIT1_EEPKT4_lPKT5_lS7_PT6_PKS3_21rocsparse_index_base_b
	.p2align	8
	.type	_ZN9rocsparseL16sddmm_ell_kernelILi512ELi4EfllDF16_DF16_fEEv20rocsparse_operation_S1_16rocsparse_order_S2_T3_S3_S3_T2_NS_24const_host_device_scalarIT1_EEPKT4_lPKT5_lS7_PT6_PKS3_21rocsparse_index_base_b,@function
_ZN9rocsparseL16sddmm_ell_kernelILi512ELi4EfllDF16_DF16_fEEv20rocsparse_operation_S1_16rocsparse_order_S2_T3_S3_S3_T2_NS_24const_host_device_scalarIT1_EEPKT4_lPKT5_lS7_PT6_PKS3_21rocsparse_index_base_b: ; @_ZN9rocsparseL16sddmm_ell_kernelILi512ELi4EfllDF16_DF16_fEEv20rocsparse_operation_S1_16rocsparse_order_S2_T3_S3_S3_T2_NS_24const_host_device_scalarIT1_EEPKT4_lPKT5_lS7_PT6_PKS3_21rocsparse_index_base_b
; %bb.0:
	s_load_dwordx2 s[18:19], s[4:5], 0x70
	s_load_dwordx2 s[16:17], s[4:5], 0x30
	s_load_dwordx4 s[8:11], s[4:5], 0x50
	s_waitcnt lgkmcnt(0)
	s_bitcmp1_b32 s19, 0
	s_cselect_b64 s[2:3], -1, 0
	s_xor_b64 s[0:1], s[2:3], -1
	s_and_b64 vcc, exec, s[2:3]
	s_cbranch_vccnz .LBB65_2
; %bb.1:
	s_load_dword s16, s[16:17], 0x0
.LBB65_2:
	s_andn2_b64 vcc, exec, s[0:1]
	s_cbranch_vccnz .LBB65_4
; %bb.3:
	s_load_dword s10, s[10:11], 0x0
.LBB65_4:
	s_waitcnt lgkmcnt(0)
	v_cmp_eq_f32_e64 s[0:1], s16, 0
	v_cmp_eq_f32_e64 s[2:3], s10, 1.0
	s_and_b64 s[0:1], s[0:1], s[2:3]
	s_and_b64 vcc, exec, s[0:1]
	s_cbranch_vccnz .LBB65_37
; %bb.5:
	s_load_dwordx4 s[12:15], s[4:5], 0x20
	v_lshrrev_b32_e32 v10, 2, v0
	v_lshl_or_b32 v2, s6, 7, v10
	v_mov_b32_e32 v3, 0
	s_waitcnt lgkmcnt(0)
	v_cmp_gt_i64_e32 vcc, s[14:15], v[2:3]
	s_and_saveexec_b64 s[0:1], vcc
	s_cbranch_execz .LBB65_37
; %bb.6:
	s_load_dwordx2 s[14:15], s[4:5], 0x10
	s_load_dwordx2 s[6:7], s[4:5], 0x68
	s_mov_b32 s0, 0
                                        ; implicit-def: $vgpr8_vgpr9
	s_waitcnt lgkmcnt(0)
	s_mov_b32 s1, s15
	s_cmp_lg_u64 s[0:1], 0
	s_cselect_b64 s[0:1], -1, 0
	s_and_saveexec_b64 s[2:3], s[0:1]
	s_xor_b64 s[20:21], exec, s[2:3]
	s_cbranch_execz .LBB65_8
; %bb.7:
	s_ashr_i32 s0, s15, 31
	s_add_u32 s2, s14, s0
	s_mov_b32 s1, s0
	s_addc_u32 s3, s15, s0
	s_xor_b64 s[22:23], s[2:3], s[0:1]
	v_cvt_f32_u32_e32 v1, s22
	v_cvt_f32_u32_e32 v4, s23
	s_sub_u32 s0, 0, s22
	s_subb_u32 s1, 0, s23
	v_madmk_f32 v1, v4, 0x4f800000, v1
	v_rcp_f32_e32 v1, v1
	v_mul_f32_e32 v1, 0x5f7ffffc, v1
	v_mul_f32_e32 v4, 0x2f800000, v1
	v_trunc_f32_e32 v4, v4
	v_madmk_f32 v1, v4, 0xcf800000, v1
	v_cvt_u32_f32_e32 v4, v4
	v_cvt_u32_f32_e32 v1, v1
	v_mul_lo_u32 v5, s0, v4
	v_mul_hi_u32 v7, s0, v1
	v_mul_lo_u32 v6, s1, v1
	v_add_u32_e32 v5, v7, v5
	v_mul_lo_u32 v8, s0, v1
	v_add_u32_e32 v5, v5, v6
	v_mul_lo_u32 v7, v1, v5
	v_mul_hi_u32 v9, v1, v8
	v_mul_hi_u32 v6, v1, v5
	v_add_co_u32_e32 v7, vcc, v9, v7
	v_addc_co_u32_e32 v6, vcc, 0, v6, vcc
	v_mul_hi_u32 v11, v4, v8
	v_mul_lo_u32 v8, v4, v8
	v_add_co_u32_e32 v7, vcc, v7, v8
	v_mul_hi_u32 v9, v4, v5
	v_addc_co_u32_e32 v6, vcc, v6, v11, vcc
	v_addc_co_u32_e32 v7, vcc, 0, v9, vcc
	v_mul_lo_u32 v5, v4, v5
	v_add_co_u32_e32 v5, vcc, v6, v5
	v_addc_co_u32_e32 v6, vcc, 0, v7, vcc
	v_add_co_u32_e32 v1, vcc, v1, v5
	v_addc_co_u32_e32 v4, vcc, v4, v6, vcc
	v_mul_lo_u32 v5, s0, v4
	v_mul_hi_u32 v6, s0, v1
	v_add_u32_e32 v5, v6, v5
	v_mul_lo_u32 v6, s1, v1
	v_add_u32_e32 v5, v5, v6
	v_mul_lo_u32 v7, s0, v1
	v_mul_hi_u32 v8, v4, v7
	v_mul_lo_u32 v9, v4, v7
	v_mul_lo_u32 v12, v1, v5
	v_mul_hi_u32 v7, v1, v7
	v_mul_hi_u32 v11, v1, v5
	v_add_co_u32_e32 v7, vcc, v7, v12
	v_addc_co_u32_e32 v11, vcc, 0, v11, vcc
	v_add_co_u32_e32 v7, vcc, v7, v9
	v_mul_hi_u32 v6, v4, v5
	v_addc_co_u32_e32 v7, vcc, v11, v8, vcc
	v_addc_co_u32_e32 v6, vcc, 0, v6, vcc
	v_mul_lo_u32 v5, v4, v5
	v_add_co_u32_e32 v5, vcc, v7, v5
	v_addc_co_u32_e32 v6, vcc, 0, v6, vcc
	v_add_co_u32_e32 v1, vcc, v1, v5
	v_addc_co_u32_e32 v6, vcc, v4, v6, vcc
	v_mad_u64_u32 v[4:5], s[0:1], v2, v6, 0
	v_mul_hi_u32 v7, v2, v1
	v_add_co_u32_e32 v8, vcc, v7, v4
	v_addc_co_u32_e32 v9, vcc, 0, v5, vcc
	v_mad_u64_u32 v[4:5], s[0:1], 0, v6, 0
	v_mad_u64_u32 v[6:7], s[0:1], 0, v1, 0
	v_add_co_u32_e32 v1, vcc, v8, v6
	v_addc_co_u32_e32 v1, vcc, v9, v7, vcc
	v_addc_co_u32_e32 v5, vcc, 0, v5, vcc
	v_add_co_u32_e32 v1, vcc, v1, v4
	v_addc_co_u32_e32 v4, vcc, 0, v5, vcc
	v_mul_lo_u32 v6, s23, v1
	v_mul_lo_u32 v7, s22, v4
	v_mad_u64_u32 v[4:5], s[0:1], s22, v1, 0
	v_add3_u32 v1, v5, v7, v6
	v_sub_u32_e32 v5, 0, v1
	v_mov_b32_e32 v6, s23
	v_sub_co_u32_e32 v4, vcc, v2, v4
	v_subb_co_u32_e64 v5, s[0:1], v5, v6, vcc
	v_subrev_co_u32_e64 v7, s[0:1], s22, v4
	v_subbrev_co_u32_e64 v8, s[2:3], 0, v5, s[0:1]
	v_cmp_le_u32_e64 s[2:3], s23, v8
	v_cndmask_b32_e64 v9, 0, -1, s[2:3]
	v_cmp_le_u32_e64 s[2:3], s22, v7
	v_subb_co_u32_e64 v5, s[0:1], v5, v6, s[0:1]
	v_cndmask_b32_e64 v11, 0, -1, s[2:3]
	v_cmp_eq_u32_e64 s[2:3], s23, v8
	v_subrev_co_u32_e64 v6, s[0:1], s22, v7
	v_cndmask_b32_e64 v9, v9, v11, s[2:3]
	v_subbrev_co_u32_e64 v5, s[0:1], 0, v5, s[0:1]
	v_subb_co_u32_e32 v1, vcc, 0, v1, vcc
	v_cmp_ne_u32_e64 s[0:1], 0, v9
	v_cmp_le_u32_e32 vcc, s23, v1
	v_cndmask_b32_e64 v5, v8, v5, s[0:1]
	v_cndmask_b32_e64 v8, 0, -1, vcc
	v_cmp_le_u32_e32 vcc, s22, v4
	v_cndmask_b32_e64 v9, 0, -1, vcc
	v_cmp_eq_u32_e32 vcc, s23, v1
	v_cndmask_b32_e32 v8, v8, v9, vcc
	v_cmp_ne_u32_e32 vcc, 0, v8
	v_cndmask_b32_e32 v1, v1, v5, vcc
	v_cndmask_b32_e64 v5, v7, v6, s[0:1]
	v_cndmask_b32_e32 v4, v4, v5, vcc
	v_subrev_co_u32_e32 v8, vcc, 0, v4
	v_subbrev_co_u32_e32 v9, vcc, 0, v1, vcc
.LBB65_8:
	s_andn2_saveexec_b64 s[0:1], s[20:21]
	s_cbranch_execz .LBB65_10
; %bb.9:
	v_cvt_f32_u32_e32 v1, s14
	s_sub_i32 s2, 0, s14
	v_mov_b32_e32 v9, 0
	v_rcp_iflag_f32_e32 v1, v1
	v_mul_f32_e32 v1, 0x4f7ffffe, v1
	v_cvt_u32_f32_e32 v1, v1
	v_mul_lo_u32 v4, s2, v1
	v_mul_hi_u32 v4, v1, v4
	v_add_u32_e32 v1, v1, v4
	v_mul_hi_u32 v1, v2, v1
	v_mul_lo_u32 v1, v1, s14
	v_sub_u32_e32 v1, v2, v1
	v_subrev_u32_e32 v4, s14, v1
	v_cmp_le_u32_e32 vcc, s14, v1
	v_cndmask_b32_e32 v1, v1, v4, vcc
	v_subrev_u32_e32 v4, s14, v1
	v_cmp_le_u32_e32 vcc, s14, v1
	v_cndmask_b32_e32 v8, v1, v4, vcc
.LBB65_10:
	s_or_b64 exec, exec, s[0:1]
	v_lshlrev_b64 v[4:5], 3, v[2:3]
	v_mov_b32_e32 v1, s7
	v_add_co_u32_e32 v4, vcc, s6, v4
	v_addc_co_u32_e32 v5, vcc, v1, v5, vcc
	global_load_dwordx2 v[4:5], v[4:5], off
	s_mov_b64 s[22:23], -1
	s_waitcnt vmcnt(0)
	v_subrev_co_u32_e32 v6, vcc, s18, v4
	v_subbrev_co_u32_e32 v7, vcc, 0, v5, vcc
	v_cmp_lt_i64_e32 vcc, -1, v[6:7]
	s_and_b64 exec, exec, vcc
	s_cbranch_execz .LBB65_37
; %bb.11:
	s_load_dwordx4 s[0:3], s[4:5], 0x0
	s_load_dwordx2 s[6:7], s[4:5], 0x40
	s_waitcnt lgkmcnt(0)
	s_cmp_eq_u32 s2, 1
	s_cselect_b64 s[14:15], -1, 0
	s_cmpk_eq_i32 s0, 0x6f
	s_cselect_b64 s[18:19], -1, 0
	s_cmpk_lg_i32 s0, 0x6f
	s_cselect_b64 s[20:21], -1, 0
	s_cmp_lg_u32 s2, 1
	s_cbranch_scc0 .LBB65_15
; %bb.12:
	s_andn2_b64 vcc, exec, s[18:19]
	v_pk_mov_b32 v[4:5], v[8:9], v[8:9] op_sel:[0,1]
	s_cbranch_vccnz .LBB65_14
; %bb.13:
	v_mul_lo_u32 v1, v9, s6
	v_mul_lo_u32 v11, v8, s7
	v_mad_u64_u32 v[4:5], s[22:23], v8, s6, 0
	v_add3_u32 v5, v5, v11, v1
.LBB65_14:
	s_cbranch_execz .LBB65_16
	s_branch .LBB65_19
.LBB65_15:
                                        ; implicit-def: $vgpr4_vgpr5
	s_andn2_b64 vcc, exec, s[22:23]
	s_cbranch_vccnz .LBB65_19
.LBB65_16:
	s_andn2_b64 vcc, exec, s[20:21]
	s_cbranch_vccnz .LBB65_18
; %bb.17:
	v_mul_lo_u32 v1, v9, s6
	v_mul_lo_u32 v4, v8, s7
	v_mad_u64_u32 v[8:9], s[20:21], v8, s6, 0
	v_add3_u32 v9, v9, v4, v1
.LBB65_18:
	v_pk_mov_b32 v[4:5], v[8:9], v[8:9] op_sel:[0,1]
.LBB65_19:
	s_cmp_eq_u32 s3, 1
	s_cselect_b64 s[20:21], -1, 0
	s_cmpk_eq_i32 s1, 0x6f
	s_cselect_b64 s[22:23], -1, 0
	s_cmpk_lg_i32 s1, 0x6f
	s_cselect_b64 s[0:1], -1, 0
	s_cmp_lg_u32 s3, 1
	s_cbranch_scc0 .LBB65_23
; %bb.20:
	s_andn2_b64 vcc, exec, s[0:1]
	v_pk_mov_b32 v[8:9], v[6:7], v[6:7] op_sel:[0,1]
	s_cbranch_vccnz .LBB65_22
; %bb.21:
	v_mul_lo_u32 v1, v7, s8
	v_mul_lo_u32 v11, v6, s9
	v_mad_u64_u32 v[8:9], s[0:1], v6, s8, 0
	v_add3_u32 v9, v9, v11, v1
.LBB65_22:
	s_cbranch_execz .LBB65_24
	s_branch .LBB65_27
.LBB65_23:
                                        ; implicit-def: $vgpr8_vgpr9
.LBB65_24:
	s_andn2_b64 vcc, exec, s[22:23]
	s_cbranch_vccnz .LBB65_26
; %bb.25:
	v_mul_lo_u32 v1, v7, s8
	v_mul_lo_u32 v8, v6, s9
	v_mad_u64_u32 v[6:7], s[0:1], v6, s8, 0
	v_add3_u32 v7, v7, v8, v1
.LBB65_26:
	v_pk_mov_b32 v[8:9], v[6:7], v[6:7] op_sel:[0,1]
.LBB65_27:
	s_load_dwordx2 s[0:1], s[4:5], 0x60
	v_and_b32_e32 v0, 3, v0
	v_mov_b32_e32 v1, 0
	v_cmp_gt_i64_e32 vcc, s[12:13], v[0:1]
	s_and_saveexec_b64 s[2:3], vcc
	s_cbranch_execz .LBB65_31
; %bb.28:
	s_load_dwordx2 s[24:25], s[4:5], 0x38
	s_load_dwordx2 s[26:27], s[4:5], 0x48
	s_xor_b64 s[4:5], s[18:19], s[14:15]
	s_and_b64 s[4:5], s[4:5], exec
	s_cselect_b32 s7, 0, s7
	s_cselect_b32 s6, 1, s6
	s_xor_b64 s[4:5], s[22:23], s[20:21]
	s_and_b64 s[4:5], s[4:5], exec
	s_cselect_b32 s4, s8, 1
	s_cselect_b32 s5, s9, 0
	v_mad_u64_u32 v[6:7], s[8:9], s4, v0, 0
	v_mov_b32_e32 v12, v7
	v_mad_u64_u32 v[12:13], s[8:9], s5, v0, v[12:13]
	v_mov_b32_e32 v7, v12
	v_lshlrev_b64 v[6:7], 1, v[6:7]
	v_lshlrev_b64 v[8:9], 1, v[8:9]
	v_add_co_u32_e32 v6, vcc, v6, v8
	v_addc_co_u32_e32 v7, vcc, v7, v9, vcc
	s_waitcnt lgkmcnt(0)
	v_mov_b32_e32 v8, s27
	v_add_co_u32_e32 v6, vcc, s26, v6
	v_addc_co_u32_e32 v7, vcc, v8, v7, vcc
	v_mad_u64_u32 v[8:9], s[8:9], s6, v0, 0
	v_mov_b32_e32 v12, v9
	v_mad_u64_u32 v[12:13], s[8:9], s7, v0, v[12:13]
	v_mov_b32_e32 v9, v12
	v_lshlrev_b64 v[8:9], 1, v[8:9]
	v_lshlrev_b64 v[4:5], 1, v[4:5]
	v_add_co_u32_e32 v4, vcc, v8, v4
	v_addc_co_u32_e32 v5, vcc, v9, v5, vcc
	s_lshl_b64 s[4:5], s[4:5], 3
	v_mov_b32_e32 v8, s25
	v_add_co_u32_e32 v4, vcc, s24, v4
	s_lshl_b64 s[8:9], s[6:7], 3
	v_mov_b32_e32 v13, 0
	v_addc_co_u32_e32 v5, vcc, v8, v5, vcc
	s_mov_b64 s[6:7], 0
	v_mov_b32_e32 v11, s5
	v_mov_b32_e32 v12, s9
	v_pk_mov_b32 v[8:9], v[0:1], v[0:1] op_sel:[0,1]
	v_mov_b32_e32 v1, v13
.LBB65_29:                              ; =>This Inner Loop Header: Depth=1
	global_load_ushort v13, v[4:5], off
	global_load_ushort v14, v[6:7], off
	v_add_co_u32_e32 v8, vcc, 4, v8
	v_addc_co_u32_e32 v9, vcc, 0, v9, vcc
	v_add_co_u32_e32 v6, vcc, s4, v6
	v_addc_co_u32_e32 v7, vcc, v7, v11, vcc
	;; [unrolled: 2-line block ×3, first 2 shown]
	v_cmp_le_i64_e32 vcc, s[12:13], v[8:9]
	s_or_b64 s[6:7], vcc, s[6:7]
	s_waitcnt vmcnt(0)
	v_mul_f16_e32 v13, v13, v14
	v_cvt_f32_f16_e32 v13, v13
	v_add_f32_e32 v1, v1, v13
	s_andn2_b64 exec, exec, s[6:7]
	s_cbranch_execnz .LBB65_29
; %bb.30:
	s_or_b64 exec, exec, s[6:7]
.LBB65_31:
	s_or_b64 exec, exec, s[2:3]
	v_lshlrev_b32_e32 v4, 2, v0
	v_lshl_or_b32 v4, v10, 4, v4
	v_cmp_gt_u32_e32 vcc, 2, v0
	ds_write_b32 v4, v1
	s_waitcnt lgkmcnt(0)
	s_barrier
	s_and_saveexec_b64 s[2:3], vcc
	s_cbranch_execz .LBB65_33
; %bb.32:
	ds_read2_b32 v[6:7], v4 offset1:2
	s_waitcnt lgkmcnt(0)
	v_add_f32_e32 v1, v7, v6
	ds_write_b32 v4, v1
.LBB65_33:
	s_or_b64 exec, exec, s[2:3]
	v_cmp_eq_u32_e32 vcc, 0, v0
	v_lshlrev_b32_e32 v0, 4, v10
	s_waitcnt lgkmcnt(0)
	s_barrier
	s_and_saveexec_b64 s[2:3], vcc
	s_cbranch_execz .LBB65_35
; %bb.34:
	ds_read_b32 v1, v0 offset:4
	ds_read_b32 v5, v4
	s_waitcnt lgkmcnt(0)
	v_add_f32_e32 v1, v1, v5
	ds_write_b32 v4, v1
.LBB65_35:
	s_or_b64 exec, exec, s[2:3]
	s_waitcnt lgkmcnt(0)
	s_barrier
	s_and_b64 exec, exec, vcc
	s_cbranch_execz .LBB65_37
; %bb.36:
	v_lshlrev_b64 v[2:3], 2, v[2:3]
	v_mov_b32_e32 v1, s1
	v_add_co_u32_e32 v2, vcc, s0, v2
	v_addc_co_u32_e32 v3, vcc, v1, v3, vcc
	global_load_dword v1, v[2:3], off
	ds_read_b32 v0, v0
	s_waitcnt lgkmcnt(0)
	v_mul_f32_e32 v0, s16, v0
	s_waitcnt vmcnt(0)
	v_fmac_f32_e32 v0, s10, v1
	global_store_dword v[2:3], v0, off
.LBB65_37:
	s_endpgm
	.section	.rodata,"a",@progbits
	.p2align	6, 0x0
	.amdhsa_kernel _ZN9rocsparseL16sddmm_ell_kernelILi512ELi4EfllDF16_DF16_fEEv20rocsparse_operation_S1_16rocsparse_order_S2_T3_S3_S3_T2_NS_24const_host_device_scalarIT1_EEPKT4_lPKT5_lS7_PT6_PKS3_21rocsparse_index_base_b
		.amdhsa_group_segment_fixed_size 2048
		.amdhsa_private_segment_fixed_size 0
		.amdhsa_kernarg_size 120
		.amdhsa_user_sgpr_count 6
		.amdhsa_user_sgpr_private_segment_buffer 1
		.amdhsa_user_sgpr_dispatch_ptr 0
		.amdhsa_user_sgpr_queue_ptr 0
		.amdhsa_user_sgpr_kernarg_segment_ptr 1
		.amdhsa_user_sgpr_dispatch_id 0
		.amdhsa_user_sgpr_flat_scratch_init 0
		.amdhsa_user_sgpr_kernarg_preload_length 0
		.amdhsa_user_sgpr_kernarg_preload_offset 0
		.amdhsa_user_sgpr_private_segment_size 0
		.amdhsa_uses_dynamic_stack 0
		.amdhsa_system_sgpr_private_segment_wavefront_offset 0
		.amdhsa_system_sgpr_workgroup_id_x 1
		.amdhsa_system_sgpr_workgroup_id_y 0
		.amdhsa_system_sgpr_workgroup_id_z 0
		.amdhsa_system_sgpr_workgroup_info 0
		.amdhsa_system_vgpr_workitem_id 0
		.amdhsa_next_free_vgpr 15
		.amdhsa_next_free_sgpr 28
		.amdhsa_accum_offset 16
		.amdhsa_reserve_vcc 1
		.amdhsa_reserve_flat_scratch 0
		.amdhsa_float_round_mode_32 0
		.amdhsa_float_round_mode_16_64 0
		.amdhsa_float_denorm_mode_32 3
		.amdhsa_float_denorm_mode_16_64 3
		.amdhsa_dx10_clamp 1
		.amdhsa_ieee_mode 1
		.amdhsa_fp16_overflow 0
		.amdhsa_tg_split 0
		.amdhsa_exception_fp_ieee_invalid_op 0
		.amdhsa_exception_fp_denorm_src 0
		.amdhsa_exception_fp_ieee_div_zero 0
		.amdhsa_exception_fp_ieee_overflow 0
		.amdhsa_exception_fp_ieee_underflow 0
		.amdhsa_exception_fp_ieee_inexact 0
		.amdhsa_exception_int_div_zero 0
	.end_amdhsa_kernel
	.section	.text._ZN9rocsparseL16sddmm_ell_kernelILi512ELi4EfllDF16_DF16_fEEv20rocsparse_operation_S1_16rocsparse_order_S2_T3_S3_S3_T2_NS_24const_host_device_scalarIT1_EEPKT4_lPKT5_lS7_PT6_PKS3_21rocsparse_index_base_b,"axG",@progbits,_ZN9rocsparseL16sddmm_ell_kernelILi512ELi4EfllDF16_DF16_fEEv20rocsparse_operation_S1_16rocsparse_order_S2_T3_S3_S3_T2_NS_24const_host_device_scalarIT1_EEPKT4_lPKT5_lS7_PT6_PKS3_21rocsparse_index_base_b,comdat
.Lfunc_end65:
	.size	_ZN9rocsparseL16sddmm_ell_kernelILi512ELi4EfllDF16_DF16_fEEv20rocsparse_operation_S1_16rocsparse_order_S2_T3_S3_S3_T2_NS_24const_host_device_scalarIT1_EEPKT4_lPKT5_lS7_PT6_PKS3_21rocsparse_index_base_b, .Lfunc_end65-_ZN9rocsparseL16sddmm_ell_kernelILi512ELi4EfllDF16_DF16_fEEv20rocsparse_operation_S1_16rocsparse_order_S2_T3_S3_S3_T2_NS_24const_host_device_scalarIT1_EEPKT4_lPKT5_lS7_PT6_PKS3_21rocsparse_index_base_b
                                        ; -- End function
	.section	.AMDGPU.csdata,"",@progbits
; Kernel info:
; codeLenInByte = 1812
; NumSgprs: 32
; NumVgprs: 15
; NumAgprs: 0
; TotalNumVgprs: 15
; ScratchSize: 0
; MemoryBound: 0
; FloatMode: 240
; IeeeMode: 1
; LDSByteSize: 2048 bytes/workgroup (compile time only)
; SGPRBlocks: 3
; VGPRBlocks: 1
; NumSGPRsForWavesPerEU: 32
; NumVGPRsForWavesPerEU: 15
; AccumOffset: 16
; Occupancy: 8
; WaveLimiterHint : 0
; COMPUTE_PGM_RSRC2:SCRATCH_EN: 0
; COMPUTE_PGM_RSRC2:USER_SGPR: 6
; COMPUTE_PGM_RSRC2:TRAP_HANDLER: 0
; COMPUTE_PGM_RSRC2:TGID_X_EN: 1
; COMPUTE_PGM_RSRC2:TGID_Y_EN: 0
; COMPUTE_PGM_RSRC2:TGID_Z_EN: 0
; COMPUTE_PGM_RSRC2:TIDIG_COMP_CNT: 0
; COMPUTE_PGM_RSRC3_GFX90A:ACCUM_OFFSET: 3
; COMPUTE_PGM_RSRC3_GFX90A:TG_SPLIT: 0
	.section	.text._ZN9rocsparseL16sddmm_ell_kernelILi512ELi2EfllDF16_DF16_fEEv20rocsparse_operation_S1_16rocsparse_order_S2_T3_S3_S3_T2_NS_24const_host_device_scalarIT1_EEPKT4_lPKT5_lS7_PT6_PKS3_21rocsparse_index_base_b,"axG",@progbits,_ZN9rocsparseL16sddmm_ell_kernelILi512ELi2EfllDF16_DF16_fEEv20rocsparse_operation_S1_16rocsparse_order_S2_T3_S3_S3_T2_NS_24const_host_device_scalarIT1_EEPKT4_lPKT5_lS7_PT6_PKS3_21rocsparse_index_base_b,comdat
	.globl	_ZN9rocsparseL16sddmm_ell_kernelILi512ELi2EfllDF16_DF16_fEEv20rocsparse_operation_S1_16rocsparse_order_S2_T3_S3_S3_T2_NS_24const_host_device_scalarIT1_EEPKT4_lPKT5_lS7_PT6_PKS3_21rocsparse_index_base_b ; -- Begin function _ZN9rocsparseL16sddmm_ell_kernelILi512ELi2EfllDF16_DF16_fEEv20rocsparse_operation_S1_16rocsparse_order_S2_T3_S3_S3_T2_NS_24const_host_device_scalarIT1_EEPKT4_lPKT5_lS7_PT6_PKS3_21rocsparse_index_base_b
	.p2align	8
	.type	_ZN9rocsparseL16sddmm_ell_kernelILi512ELi2EfllDF16_DF16_fEEv20rocsparse_operation_S1_16rocsparse_order_S2_T3_S3_S3_T2_NS_24const_host_device_scalarIT1_EEPKT4_lPKT5_lS7_PT6_PKS3_21rocsparse_index_base_b,@function
_ZN9rocsparseL16sddmm_ell_kernelILi512ELi2EfllDF16_DF16_fEEv20rocsparse_operation_S1_16rocsparse_order_S2_T3_S3_S3_T2_NS_24const_host_device_scalarIT1_EEPKT4_lPKT5_lS7_PT6_PKS3_21rocsparse_index_base_b: ; @_ZN9rocsparseL16sddmm_ell_kernelILi512ELi2EfllDF16_DF16_fEEv20rocsparse_operation_S1_16rocsparse_order_S2_T3_S3_S3_T2_NS_24const_host_device_scalarIT1_EEPKT4_lPKT5_lS7_PT6_PKS3_21rocsparse_index_base_b
; %bb.0:
	s_load_dwordx2 s[18:19], s[4:5], 0x70
	s_load_dwordx2 s[16:17], s[4:5], 0x30
	s_load_dwordx4 s[8:11], s[4:5], 0x50
	s_waitcnt lgkmcnt(0)
	s_bitcmp1_b32 s19, 0
	s_cselect_b64 s[2:3], -1, 0
	s_xor_b64 s[0:1], s[2:3], -1
	s_and_b64 vcc, exec, s[2:3]
	s_cbranch_vccnz .LBB66_2
; %bb.1:
	s_load_dword s16, s[16:17], 0x0
.LBB66_2:
	s_andn2_b64 vcc, exec, s[0:1]
	s_cbranch_vccnz .LBB66_4
; %bb.3:
	s_load_dword s10, s[10:11], 0x0
.LBB66_4:
	s_waitcnt lgkmcnt(0)
	v_cmp_eq_f32_e64 s[0:1], s16, 0
	v_cmp_eq_f32_e64 s[2:3], s10, 1.0
	s_and_b64 s[0:1], s[0:1], s[2:3]
	s_and_b64 vcc, exec, s[0:1]
	s_cbranch_vccnz .LBB66_35
; %bb.5:
	s_load_dwordx4 s[12:15], s[4:5], 0x20
	v_lshrrev_b32_e32 v10, 1, v0
	v_lshl_or_b32 v2, s6, 8, v10
	v_mov_b32_e32 v3, 0
	s_waitcnt lgkmcnt(0)
	v_cmp_gt_i64_e32 vcc, s[14:15], v[2:3]
	s_and_saveexec_b64 s[0:1], vcc
	s_cbranch_execz .LBB66_35
; %bb.6:
	s_load_dwordx2 s[14:15], s[4:5], 0x10
	s_load_dwordx2 s[6:7], s[4:5], 0x68
	s_mov_b32 s0, 0
                                        ; implicit-def: $vgpr8_vgpr9
	s_waitcnt lgkmcnt(0)
	s_mov_b32 s1, s15
	s_cmp_lg_u64 s[0:1], 0
	s_cselect_b64 s[0:1], -1, 0
	s_and_saveexec_b64 s[2:3], s[0:1]
	s_xor_b64 s[20:21], exec, s[2:3]
	s_cbranch_execz .LBB66_8
; %bb.7:
	s_ashr_i32 s0, s15, 31
	s_add_u32 s2, s14, s0
	s_mov_b32 s1, s0
	s_addc_u32 s3, s15, s0
	s_xor_b64 s[22:23], s[2:3], s[0:1]
	v_cvt_f32_u32_e32 v1, s22
	v_cvt_f32_u32_e32 v4, s23
	s_sub_u32 s0, 0, s22
	s_subb_u32 s1, 0, s23
	v_madmk_f32 v1, v4, 0x4f800000, v1
	v_rcp_f32_e32 v1, v1
	v_mul_f32_e32 v1, 0x5f7ffffc, v1
	v_mul_f32_e32 v4, 0x2f800000, v1
	v_trunc_f32_e32 v4, v4
	v_madmk_f32 v1, v4, 0xcf800000, v1
	v_cvt_u32_f32_e32 v4, v4
	v_cvt_u32_f32_e32 v1, v1
	v_mul_lo_u32 v5, s0, v4
	v_mul_hi_u32 v7, s0, v1
	v_mul_lo_u32 v6, s1, v1
	v_add_u32_e32 v5, v7, v5
	v_mul_lo_u32 v8, s0, v1
	v_add_u32_e32 v5, v5, v6
	v_mul_lo_u32 v7, v1, v5
	v_mul_hi_u32 v9, v1, v8
	v_mul_hi_u32 v6, v1, v5
	v_add_co_u32_e32 v7, vcc, v9, v7
	v_addc_co_u32_e32 v6, vcc, 0, v6, vcc
	v_mul_hi_u32 v11, v4, v8
	v_mul_lo_u32 v8, v4, v8
	v_add_co_u32_e32 v7, vcc, v7, v8
	v_mul_hi_u32 v9, v4, v5
	v_addc_co_u32_e32 v6, vcc, v6, v11, vcc
	v_addc_co_u32_e32 v7, vcc, 0, v9, vcc
	v_mul_lo_u32 v5, v4, v5
	v_add_co_u32_e32 v5, vcc, v6, v5
	v_addc_co_u32_e32 v6, vcc, 0, v7, vcc
	v_add_co_u32_e32 v1, vcc, v1, v5
	v_addc_co_u32_e32 v4, vcc, v4, v6, vcc
	v_mul_lo_u32 v5, s0, v4
	v_mul_hi_u32 v6, s0, v1
	v_add_u32_e32 v5, v6, v5
	v_mul_lo_u32 v6, s1, v1
	v_add_u32_e32 v5, v5, v6
	v_mul_lo_u32 v7, s0, v1
	v_mul_hi_u32 v8, v4, v7
	v_mul_lo_u32 v9, v4, v7
	v_mul_lo_u32 v12, v1, v5
	v_mul_hi_u32 v7, v1, v7
	v_mul_hi_u32 v11, v1, v5
	v_add_co_u32_e32 v7, vcc, v7, v12
	v_addc_co_u32_e32 v11, vcc, 0, v11, vcc
	v_add_co_u32_e32 v7, vcc, v7, v9
	v_mul_hi_u32 v6, v4, v5
	v_addc_co_u32_e32 v7, vcc, v11, v8, vcc
	v_addc_co_u32_e32 v6, vcc, 0, v6, vcc
	v_mul_lo_u32 v5, v4, v5
	v_add_co_u32_e32 v5, vcc, v7, v5
	v_addc_co_u32_e32 v6, vcc, 0, v6, vcc
	v_add_co_u32_e32 v1, vcc, v1, v5
	v_addc_co_u32_e32 v6, vcc, v4, v6, vcc
	v_mad_u64_u32 v[4:5], s[0:1], v2, v6, 0
	v_mul_hi_u32 v7, v2, v1
	v_add_co_u32_e32 v8, vcc, v7, v4
	v_addc_co_u32_e32 v9, vcc, 0, v5, vcc
	v_mad_u64_u32 v[4:5], s[0:1], 0, v6, 0
	v_mad_u64_u32 v[6:7], s[0:1], 0, v1, 0
	v_add_co_u32_e32 v1, vcc, v8, v6
	v_addc_co_u32_e32 v1, vcc, v9, v7, vcc
	v_addc_co_u32_e32 v5, vcc, 0, v5, vcc
	v_add_co_u32_e32 v1, vcc, v1, v4
	v_addc_co_u32_e32 v4, vcc, 0, v5, vcc
	v_mul_lo_u32 v6, s23, v1
	v_mul_lo_u32 v7, s22, v4
	v_mad_u64_u32 v[4:5], s[0:1], s22, v1, 0
	v_add3_u32 v1, v5, v7, v6
	v_sub_u32_e32 v5, 0, v1
	v_mov_b32_e32 v6, s23
	v_sub_co_u32_e32 v4, vcc, v2, v4
	v_subb_co_u32_e64 v5, s[0:1], v5, v6, vcc
	v_subrev_co_u32_e64 v7, s[0:1], s22, v4
	v_subbrev_co_u32_e64 v8, s[2:3], 0, v5, s[0:1]
	v_cmp_le_u32_e64 s[2:3], s23, v8
	v_cndmask_b32_e64 v9, 0, -1, s[2:3]
	v_cmp_le_u32_e64 s[2:3], s22, v7
	v_subb_co_u32_e64 v5, s[0:1], v5, v6, s[0:1]
	v_cndmask_b32_e64 v11, 0, -1, s[2:3]
	v_cmp_eq_u32_e64 s[2:3], s23, v8
	v_subrev_co_u32_e64 v6, s[0:1], s22, v7
	v_cndmask_b32_e64 v9, v9, v11, s[2:3]
	v_subbrev_co_u32_e64 v5, s[0:1], 0, v5, s[0:1]
	v_subb_co_u32_e32 v1, vcc, 0, v1, vcc
	v_cmp_ne_u32_e64 s[0:1], 0, v9
	v_cmp_le_u32_e32 vcc, s23, v1
	v_cndmask_b32_e64 v5, v8, v5, s[0:1]
	v_cndmask_b32_e64 v8, 0, -1, vcc
	v_cmp_le_u32_e32 vcc, s22, v4
	v_cndmask_b32_e64 v9, 0, -1, vcc
	v_cmp_eq_u32_e32 vcc, s23, v1
	v_cndmask_b32_e32 v8, v8, v9, vcc
	v_cmp_ne_u32_e32 vcc, 0, v8
	v_cndmask_b32_e32 v1, v1, v5, vcc
	v_cndmask_b32_e64 v5, v7, v6, s[0:1]
	v_cndmask_b32_e32 v4, v4, v5, vcc
	v_subrev_co_u32_e32 v8, vcc, 0, v4
	v_subbrev_co_u32_e32 v9, vcc, 0, v1, vcc
.LBB66_8:
	s_andn2_saveexec_b64 s[0:1], s[20:21]
	s_cbranch_execz .LBB66_10
; %bb.9:
	v_cvt_f32_u32_e32 v1, s14
	s_sub_i32 s2, 0, s14
	v_mov_b32_e32 v9, 0
	v_rcp_iflag_f32_e32 v1, v1
	v_mul_f32_e32 v1, 0x4f7ffffe, v1
	v_cvt_u32_f32_e32 v1, v1
	v_mul_lo_u32 v4, s2, v1
	v_mul_hi_u32 v4, v1, v4
	v_add_u32_e32 v1, v1, v4
	v_mul_hi_u32 v1, v2, v1
	v_mul_lo_u32 v1, v1, s14
	v_sub_u32_e32 v1, v2, v1
	v_subrev_u32_e32 v4, s14, v1
	v_cmp_le_u32_e32 vcc, s14, v1
	v_cndmask_b32_e32 v1, v1, v4, vcc
	v_subrev_u32_e32 v4, s14, v1
	v_cmp_le_u32_e32 vcc, s14, v1
	v_cndmask_b32_e32 v8, v1, v4, vcc
.LBB66_10:
	s_or_b64 exec, exec, s[0:1]
	v_lshlrev_b64 v[4:5], 3, v[2:3]
	v_mov_b32_e32 v1, s7
	v_add_co_u32_e32 v4, vcc, s6, v4
	v_addc_co_u32_e32 v5, vcc, v1, v5, vcc
	global_load_dwordx2 v[4:5], v[4:5], off
	s_mov_b64 s[22:23], -1
	s_waitcnt vmcnt(0)
	v_subrev_co_u32_e32 v6, vcc, s18, v4
	v_subbrev_co_u32_e32 v7, vcc, 0, v5, vcc
	v_cmp_lt_i64_e32 vcc, -1, v[6:7]
	s_and_b64 exec, exec, vcc
	s_cbranch_execz .LBB66_35
; %bb.11:
	s_load_dwordx4 s[0:3], s[4:5], 0x0
	s_load_dwordx2 s[6:7], s[4:5], 0x40
	s_waitcnt lgkmcnt(0)
	s_cmp_eq_u32 s2, 1
	s_cselect_b64 s[14:15], -1, 0
	s_cmpk_eq_i32 s0, 0x6f
	s_cselect_b64 s[18:19], -1, 0
	s_cmpk_lg_i32 s0, 0x6f
	s_cselect_b64 s[20:21], -1, 0
	s_cmp_lg_u32 s2, 1
	s_cbranch_scc0 .LBB66_15
; %bb.12:
	s_andn2_b64 vcc, exec, s[18:19]
	v_pk_mov_b32 v[4:5], v[8:9], v[8:9] op_sel:[0,1]
	s_cbranch_vccnz .LBB66_14
; %bb.13:
	v_mul_lo_u32 v1, v9, s6
	v_mul_lo_u32 v11, v8, s7
	v_mad_u64_u32 v[4:5], s[22:23], v8, s6, 0
	v_add3_u32 v5, v5, v11, v1
.LBB66_14:
	s_cbranch_execz .LBB66_16
	s_branch .LBB66_19
.LBB66_15:
                                        ; implicit-def: $vgpr4_vgpr5
	s_andn2_b64 vcc, exec, s[22:23]
	s_cbranch_vccnz .LBB66_19
.LBB66_16:
	s_andn2_b64 vcc, exec, s[20:21]
	s_cbranch_vccnz .LBB66_18
; %bb.17:
	v_mul_lo_u32 v1, v9, s6
	v_mul_lo_u32 v4, v8, s7
	v_mad_u64_u32 v[8:9], s[20:21], v8, s6, 0
	v_add3_u32 v9, v9, v4, v1
.LBB66_18:
	v_pk_mov_b32 v[4:5], v[8:9], v[8:9] op_sel:[0,1]
.LBB66_19:
	s_cmp_eq_u32 s3, 1
	s_cselect_b64 s[20:21], -1, 0
	s_cmpk_eq_i32 s1, 0x6f
	s_cselect_b64 s[22:23], -1, 0
	s_cmpk_lg_i32 s1, 0x6f
	s_cselect_b64 s[0:1], -1, 0
	s_cmp_lg_u32 s3, 1
	s_cbranch_scc0 .LBB66_23
; %bb.20:
	s_andn2_b64 vcc, exec, s[0:1]
	v_pk_mov_b32 v[8:9], v[6:7], v[6:7] op_sel:[0,1]
	s_cbranch_vccnz .LBB66_22
; %bb.21:
	v_mul_lo_u32 v1, v7, s8
	v_mul_lo_u32 v11, v6, s9
	v_mad_u64_u32 v[8:9], s[0:1], v6, s8, 0
	v_add3_u32 v9, v9, v11, v1
.LBB66_22:
	s_cbranch_execz .LBB66_24
	s_branch .LBB66_27
.LBB66_23:
                                        ; implicit-def: $vgpr8_vgpr9
.LBB66_24:
	s_andn2_b64 vcc, exec, s[22:23]
	s_cbranch_vccnz .LBB66_26
; %bb.25:
	v_mul_lo_u32 v1, v7, s8
	v_mul_lo_u32 v8, v6, s9
	v_mad_u64_u32 v[6:7], s[0:1], v6, s8, 0
	v_add3_u32 v7, v7, v8, v1
.LBB66_26:
	v_pk_mov_b32 v[8:9], v[6:7], v[6:7] op_sel:[0,1]
.LBB66_27:
	s_load_dwordx2 s[0:1], s[4:5], 0x60
	v_and_b32_e32 v0, 1, v0
	v_mov_b32_e32 v1, 0
	v_cmp_gt_i64_e32 vcc, s[12:13], v[0:1]
	s_and_saveexec_b64 s[2:3], vcc
	s_cbranch_execz .LBB66_31
; %bb.28:
	s_load_dwordx2 s[24:25], s[4:5], 0x38
	s_load_dwordx2 s[26:27], s[4:5], 0x48
	s_xor_b64 s[4:5], s[18:19], s[14:15]
	s_and_b64 s[4:5], s[4:5], exec
	s_cselect_b32 s7, 0, s7
	s_cselect_b32 s6, 1, s6
	s_xor_b64 s[4:5], s[22:23], s[20:21]
	s_and_b64 s[4:5], s[4:5], exec
	s_cselect_b32 s5, s9, 0
	s_cselect_b32 s4, s8, 1
	v_mul_lo_u32 v7, s5, v0
	v_mul_lo_u32 v6, s4, v0
	v_lshlrev_b64 v[6:7], 1, v[6:7]
	v_lshlrev_b64 v[8:9], 1, v[8:9]
	v_add_co_u32_e32 v6, vcc, v6, v8
	v_addc_co_u32_e32 v7, vcc, v7, v9, vcc
	s_waitcnt lgkmcnt(0)
	v_mov_b32_e32 v8, s27
	v_add_co_u32_e32 v6, vcc, s26, v6
	v_addc_co_u32_e32 v7, vcc, v8, v7, vcc
	v_mul_lo_u32 v9, s7, v0
	v_mul_lo_u32 v8, s6, v0
	v_lshlrev_b64 v[8:9], 1, v[8:9]
	v_lshlrev_b64 v[4:5], 1, v[4:5]
	v_add_co_u32_e32 v4, vcc, v8, v4
	v_addc_co_u32_e32 v5, vcc, v9, v5, vcc
	s_lshl_b64 s[4:5], s[4:5], 2
	v_mov_b32_e32 v8, s25
	v_add_co_u32_e32 v4, vcc, s24, v4
	s_lshl_b64 s[8:9], s[6:7], 2
	v_mov_b32_e32 v13, 0
	v_addc_co_u32_e32 v5, vcc, v8, v5, vcc
	s_mov_b64 s[6:7], 0
	v_mov_b32_e32 v11, s5
	v_mov_b32_e32 v12, s9
	v_pk_mov_b32 v[8:9], v[0:1], v[0:1] op_sel:[0,1]
	v_mov_b32_e32 v1, v13
.LBB66_29:                              ; =>This Inner Loop Header: Depth=1
	global_load_ushort v13, v[4:5], off
	global_load_ushort v14, v[6:7], off
	v_add_co_u32_e32 v8, vcc, 2, v8
	v_addc_co_u32_e32 v9, vcc, 0, v9, vcc
	v_add_co_u32_e32 v6, vcc, s4, v6
	v_addc_co_u32_e32 v7, vcc, v7, v11, vcc
	v_add_co_u32_e32 v4, vcc, s8, v4
	v_addc_co_u32_e32 v5, vcc, v5, v12, vcc
	v_cmp_le_i64_e32 vcc, s[12:13], v[8:9]
	s_or_b64 s[6:7], vcc, s[6:7]
	s_waitcnt vmcnt(0)
	v_mul_f16_e32 v13, v13, v14
	v_cvt_f32_f16_e32 v13, v13
	v_add_f32_e32 v1, v1, v13
	s_andn2_b64 exec, exec, s[6:7]
	s_cbranch_execnz .LBB66_29
; %bb.30:
	s_or_b64 exec, exec, s[6:7]
.LBB66_31:
	s_or_b64 exec, exec, s[2:3]
	v_lshlrev_b32_e32 v4, 3, v10
	v_lshl_or_b32 v5, v0, 2, v4
	v_cmp_eq_u32_e32 vcc, 0, v0
	ds_write_b32 v5, v1
	s_waitcnt lgkmcnt(0)
	s_barrier
	s_and_saveexec_b64 s[2:3], vcc
	s_cbranch_execz .LBB66_33
; %bb.32:
	ds_read_b32 v0, v4 offset:4
	ds_read_b32 v1, v5
	s_waitcnt lgkmcnt(0)
	v_add_f32_e32 v0, v0, v1
	ds_write_b32 v5, v0
.LBB66_33:
	s_or_b64 exec, exec, s[2:3]
	s_waitcnt lgkmcnt(0)
	s_barrier
	s_and_b64 exec, exec, vcc
	s_cbranch_execz .LBB66_35
; %bb.34:
	v_lshlrev_b64 v[0:1], 2, v[2:3]
	v_mov_b32_e32 v2, s1
	v_add_co_u32_e32 v0, vcc, s0, v0
	v_addc_co_u32_e32 v1, vcc, v2, v1, vcc
	global_load_dword v2, v[0:1], off
	ds_read_b32 v3, v4
	s_waitcnt lgkmcnt(0)
	v_mul_f32_e32 v3, s16, v3
	s_waitcnt vmcnt(0)
	v_fmac_f32_e32 v3, s10, v2
	global_store_dword v[0:1], v3, off
.LBB66_35:
	s_endpgm
	.section	.rodata,"a",@progbits
	.p2align	6, 0x0
	.amdhsa_kernel _ZN9rocsparseL16sddmm_ell_kernelILi512ELi2EfllDF16_DF16_fEEv20rocsparse_operation_S1_16rocsparse_order_S2_T3_S3_S3_T2_NS_24const_host_device_scalarIT1_EEPKT4_lPKT5_lS7_PT6_PKS3_21rocsparse_index_base_b
		.amdhsa_group_segment_fixed_size 2048
		.amdhsa_private_segment_fixed_size 0
		.amdhsa_kernarg_size 120
		.amdhsa_user_sgpr_count 6
		.amdhsa_user_sgpr_private_segment_buffer 1
		.amdhsa_user_sgpr_dispatch_ptr 0
		.amdhsa_user_sgpr_queue_ptr 0
		.amdhsa_user_sgpr_kernarg_segment_ptr 1
		.amdhsa_user_sgpr_dispatch_id 0
		.amdhsa_user_sgpr_flat_scratch_init 0
		.amdhsa_user_sgpr_kernarg_preload_length 0
		.amdhsa_user_sgpr_kernarg_preload_offset 0
		.amdhsa_user_sgpr_private_segment_size 0
		.amdhsa_uses_dynamic_stack 0
		.amdhsa_system_sgpr_private_segment_wavefront_offset 0
		.amdhsa_system_sgpr_workgroup_id_x 1
		.amdhsa_system_sgpr_workgroup_id_y 0
		.amdhsa_system_sgpr_workgroup_id_z 0
		.amdhsa_system_sgpr_workgroup_info 0
		.amdhsa_system_vgpr_workitem_id 0
		.amdhsa_next_free_vgpr 15
		.amdhsa_next_free_sgpr 28
		.amdhsa_accum_offset 16
		.amdhsa_reserve_vcc 1
		.amdhsa_reserve_flat_scratch 0
		.amdhsa_float_round_mode_32 0
		.amdhsa_float_round_mode_16_64 0
		.amdhsa_float_denorm_mode_32 3
		.amdhsa_float_denorm_mode_16_64 3
		.amdhsa_dx10_clamp 1
		.amdhsa_ieee_mode 1
		.amdhsa_fp16_overflow 0
		.amdhsa_tg_split 0
		.amdhsa_exception_fp_ieee_invalid_op 0
		.amdhsa_exception_fp_denorm_src 0
		.amdhsa_exception_fp_ieee_div_zero 0
		.amdhsa_exception_fp_ieee_overflow 0
		.amdhsa_exception_fp_ieee_underflow 0
		.amdhsa_exception_fp_ieee_inexact 0
		.amdhsa_exception_int_div_zero 0
	.end_amdhsa_kernel
	.section	.text._ZN9rocsparseL16sddmm_ell_kernelILi512ELi2EfllDF16_DF16_fEEv20rocsparse_operation_S1_16rocsparse_order_S2_T3_S3_S3_T2_NS_24const_host_device_scalarIT1_EEPKT4_lPKT5_lS7_PT6_PKS3_21rocsparse_index_base_b,"axG",@progbits,_ZN9rocsparseL16sddmm_ell_kernelILi512ELi2EfllDF16_DF16_fEEv20rocsparse_operation_S1_16rocsparse_order_S2_T3_S3_S3_T2_NS_24const_host_device_scalarIT1_EEPKT4_lPKT5_lS7_PT6_PKS3_21rocsparse_index_base_b,comdat
.Lfunc_end66:
	.size	_ZN9rocsparseL16sddmm_ell_kernelILi512ELi2EfllDF16_DF16_fEEv20rocsparse_operation_S1_16rocsparse_order_S2_T3_S3_S3_T2_NS_24const_host_device_scalarIT1_EEPKT4_lPKT5_lS7_PT6_PKS3_21rocsparse_index_base_b, .Lfunc_end66-_ZN9rocsparseL16sddmm_ell_kernelILi512ELi2EfllDF16_DF16_fEEv20rocsparse_operation_S1_16rocsparse_order_S2_T3_S3_S3_T2_NS_24const_host_device_scalarIT1_EEPKT4_lPKT5_lS7_PT6_PKS3_21rocsparse_index_base_b
                                        ; -- End function
	.section	.AMDGPU.csdata,"",@progbits
; Kernel info:
; codeLenInByte = 1744
; NumSgprs: 32
; NumVgprs: 15
; NumAgprs: 0
; TotalNumVgprs: 15
; ScratchSize: 0
; MemoryBound: 0
; FloatMode: 240
; IeeeMode: 1
; LDSByteSize: 2048 bytes/workgroup (compile time only)
; SGPRBlocks: 3
; VGPRBlocks: 1
; NumSGPRsForWavesPerEU: 32
; NumVGPRsForWavesPerEU: 15
; AccumOffset: 16
; Occupancy: 8
; WaveLimiterHint : 0
; COMPUTE_PGM_RSRC2:SCRATCH_EN: 0
; COMPUTE_PGM_RSRC2:USER_SGPR: 6
; COMPUTE_PGM_RSRC2:TRAP_HANDLER: 0
; COMPUTE_PGM_RSRC2:TGID_X_EN: 1
; COMPUTE_PGM_RSRC2:TGID_Y_EN: 0
; COMPUTE_PGM_RSRC2:TGID_Z_EN: 0
; COMPUTE_PGM_RSRC2:TIDIG_COMP_CNT: 0
; COMPUTE_PGM_RSRC3_GFX90A:ACCUM_OFFSET: 3
; COMPUTE_PGM_RSRC3_GFX90A:TG_SPLIT: 0
	.section	.text._ZN9rocsparseL16sddmm_ell_kernelILi512ELi1EfllDF16_DF16_fEEv20rocsparse_operation_S1_16rocsparse_order_S2_T3_S3_S3_T2_NS_24const_host_device_scalarIT1_EEPKT4_lPKT5_lS7_PT6_PKS3_21rocsparse_index_base_b,"axG",@progbits,_ZN9rocsparseL16sddmm_ell_kernelILi512ELi1EfllDF16_DF16_fEEv20rocsparse_operation_S1_16rocsparse_order_S2_T3_S3_S3_T2_NS_24const_host_device_scalarIT1_EEPKT4_lPKT5_lS7_PT6_PKS3_21rocsparse_index_base_b,comdat
	.globl	_ZN9rocsparseL16sddmm_ell_kernelILi512ELi1EfllDF16_DF16_fEEv20rocsparse_operation_S1_16rocsparse_order_S2_T3_S3_S3_T2_NS_24const_host_device_scalarIT1_EEPKT4_lPKT5_lS7_PT6_PKS3_21rocsparse_index_base_b ; -- Begin function _ZN9rocsparseL16sddmm_ell_kernelILi512ELi1EfllDF16_DF16_fEEv20rocsparse_operation_S1_16rocsparse_order_S2_T3_S3_S3_T2_NS_24const_host_device_scalarIT1_EEPKT4_lPKT5_lS7_PT6_PKS3_21rocsparse_index_base_b
	.p2align	8
	.type	_ZN9rocsparseL16sddmm_ell_kernelILi512ELi1EfllDF16_DF16_fEEv20rocsparse_operation_S1_16rocsparse_order_S2_T3_S3_S3_T2_NS_24const_host_device_scalarIT1_EEPKT4_lPKT5_lS7_PT6_PKS3_21rocsparse_index_base_b,@function
_ZN9rocsparseL16sddmm_ell_kernelILi512ELi1EfllDF16_DF16_fEEv20rocsparse_operation_S1_16rocsparse_order_S2_T3_S3_S3_T2_NS_24const_host_device_scalarIT1_EEPKT4_lPKT5_lS7_PT6_PKS3_21rocsparse_index_base_b: ; @_ZN9rocsparseL16sddmm_ell_kernelILi512ELi1EfllDF16_DF16_fEEv20rocsparse_operation_S1_16rocsparse_order_S2_T3_S3_S3_T2_NS_24const_host_device_scalarIT1_EEPKT4_lPKT5_lS7_PT6_PKS3_21rocsparse_index_base_b
; %bb.0:
	s_load_dwordx2 s[18:19], s[4:5], 0x70
	s_load_dwordx2 s[16:17], s[4:5], 0x30
	s_load_dwordx4 s[8:11], s[4:5], 0x50
	s_waitcnt lgkmcnt(0)
	s_bitcmp1_b32 s19, 0
	s_cselect_b64 s[2:3], -1, 0
	s_xor_b64 s[0:1], s[2:3], -1
	s_and_b64 vcc, exec, s[2:3]
	s_cbranch_vccnz .LBB67_2
; %bb.1:
	s_load_dword s16, s[16:17], 0x0
.LBB67_2:
	s_andn2_b64 vcc, exec, s[0:1]
	s_cbranch_vccnz .LBB67_4
; %bb.3:
	s_load_dword s10, s[10:11], 0x0
.LBB67_4:
	s_waitcnt lgkmcnt(0)
	v_cmp_eq_f32_e64 s[0:1], s16, 0
	v_cmp_eq_f32_e64 s[2:3], s10, 1.0
	s_and_b64 s[0:1], s[0:1], s[2:3]
	s_and_b64 vcc, exec, s[0:1]
	s_cbranch_vccnz .LBB67_32
; %bb.5:
	s_load_dwordx4 s[12:15], s[4:5], 0x20
	v_lshl_or_b32 v2, s6, 9, v0
	v_mov_b32_e32 v3, 0
	s_waitcnt lgkmcnt(0)
	v_cmp_gt_i64_e32 vcc, s[14:15], v[2:3]
	s_and_saveexec_b64 s[0:1], vcc
	s_cbranch_execz .LBB67_32
; %bb.6:
	s_load_dwordx2 s[14:15], s[4:5], 0x10
	s_load_dwordx2 s[6:7], s[4:5], 0x68
	s_mov_b32 s0, 0
                                        ; implicit-def: $vgpr8_vgpr9
	s_waitcnt lgkmcnt(0)
	s_mov_b32 s1, s15
	s_cmp_lg_u64 s[0:1], 0
	s_cselect_b64 s[0:1], -1, 0
	s_and_saveexec_b64 s[2:3], s[0:1]
	s_xor_b64 s[20:21], exec, s[2:3]
	s_cbranch_execz .LBB67_8
; %bb.7:
	s_ashr_i32 s0, s15, 31
	s_add_u32 s2, s14, s0
	s_mov_b32 s1, s0
	s_addc_u32 s3, s15, s0
	s_xor_b64 s[22:23], s[2:3], s[0:1]
	v_cvt_f32_u32_e32 v1, s22
	v_cvt_f32_u32_e32 v4, s23
	s_sub_u32 s0, 0, s22
	s_subb_u32 s1, 0, s23
	v_madmk_f32 v1, v4, 0x4f800000, v1
	v_rcp_f32_e32 v1, v1
	v_mul_f32_e32 v1, 0x5f7ffffc, v1
	v_mul_f32_e32 v4, 0x2f800000, v1
	v_trunc_f32_e32 v4, v4
	v_madmk_f32 v1, v4, 0xcf800000, v1
	v_cvt_u32_f32_e32 v4, v4
	v_cvt_u32_f32_e32 v1, v1
	v_mul_lo_u32 v5, s0, v4
	v_mul_hi_u32 v7, s0, v1
	v_mul_lo_u32 v6, s1, v1
	v_add_u32_e32 v5, v7, v5
	v_mul_lo_u32 v8, s0, v1
	v_add_u32_e32 v5, v5, v6
	v_mul_lo_u32 v7, v1, v5
	v_mul_hi_u32 v9, v1, v8
	v_mul_hi_u32 v6, v1, v5
	v_add_co_u32_e32 v7, vcc, v9, v7
	v_addc_co_u32_e32 v6, vcc, 0, v6, vcc
	v_mul_hi_u32 v10, v4, v8
	v_mul_lo_u32 v8, v4, v8
	v_add_co_u32_e32 v7, vcc, v7, v8
	v_mul_hi_u32 v9, v4, v5
	v_addc_co_u32_e32 v6, vcc, v6, v10, vcc
	v_addc_co_u32_e32 v7, vcc, 0, v9, vcc
	v_mul_lo_u32 v5, v4, v5
	v_add_co_u32_e32 v5, vcc, v6, v5
	v_addc_co_u32_e32 v6, vcc, 0, v7, vcc
	v_add_co_u32_e32 v1, vcc, v1, v5
	v_addc_co_u32_e32 v4, vcc, v4, v6, vcc
	v_mul_lo_u32 v5, s0, v4
	v_mul_hi_u32 v6, s0, v1
	v_add_u32_e32 v5, v6, v5
	v_mul_lo_u32 v6, s1, v1
	v_add_u32_e32 v5, v5, v6
	v_mul_lo_u32 v7, s0, v1
	v_mul_hi_u32 v8, v4, v7
	v_mul_lo_u32 v9, v4, v7
	v_mul_lo_u32 v11, v1, v5
	v_mul_hi_u32 v7, v1, v7
	v_mul_hi_u32 v10, v1, v5
	v_add_co_u32_e32 v7, vcc, v7, v11
	v_addc_co_u32_e32 v10, vcc, 0, v10, vcc
	v_add_co_u32_e32 v7, vcc, v7, v9
	v_mul_hi_u32 v6, v4, v5
	v_addc_co_u32_e32 v7, vcc, v10, v8, vcc
	v_addc_co_u32_e32 v6, vcc, 0, v6, vcc
	v_mul_lo_u32 v5, v4, v5
	v_add_co_u32_e32 v5, vcc, v7, v5
	v_addc_co_u32_e32 v6, vcc, 0, v6, vcc
	v_add_co_u32_e32 v1, vcc, v1, v5
	v_addc_co_u32_e32 v6, vcc, v4, v6, vcc
	v_mad_u64_u32 v[4:5], s[0:1], v2, v6, 0
	v_mul_hi_u32 v7, v2, v1
	v_add_co_u32_e32 v8, vcc, v7, v4
	v_addc_co_u32_e32 v9, vcc, 0, v5, vcc
	v_mad_u64_u32 v[4:5], s[0:1], 0, v6, 0
	v_mad_u64_u32 v[6:7], s[0:1], 0, v1, 0
	v_add_co_u32_e32 v1, vcc, v8, v6
	v_addc_co_u32_e32 v1, vcc, v9, v7, vcc
	v_addc_co_u32_e32 v5, vcc, 0, v5, vcc
	v_add_co_u32_e32 v1, vcc, v1, v4
	v_addc_co_u32_e32 v4, vcc, 0, v5, vcc
	v_mul_lo_u32 v6, s23, v1
	v_mul_lo_u32 v7, s22, v4
	v_mad_u64_u32 v[4:5], s[0:1], s22, v1, 0
	v_add3_u32 v1, v5, v7, v6
	v_sub_u32_e32 v5, 0, v1
	v_mov_b32_e32 v6, s23
	v_sub_co_u32_e32 v4, vcc, v2, v4
	v_subb_co_u32_e64 v5, s[0:1], v5, v6, vcc
	v_subrev_co_u32_e64 v7, s[0:1], s22, v4
	v_subbrev_co_u32_e64 v8, s[2:3], 0, v5, s[0:1]
	v_cmp_le_u32_e64 s[2:3], s23, v8
	v_cndmask_b32_e64 v9, 0, -1, s[2:3]
	v_cmp_le_u32_e64 s[2:3], s22, v7
	v_subb_co_u32_e64 v5, s[0:1], v5, v6, s[0:1]
	v_cndmask_b32_e64 v10, 0, -1, s[2:3]
	v_cmp_eq_u32_e64 s[2:3], s23, v8
	v_subrev_co_u32_e64 v6, s[0:1], s22, v7
	v_cndmask_b32_e64 v9, v9, v10, s[2:3]
	v_subbrev_co_u32_e64 v5, s[0:1], 0, v5, s[0:1]
	v_subb_co_u32_e32 v1, vcc, 0, v1, vcc
	v_cmp_ne_u32_e64 s[0:1], 0, v9
	v_cmp_le_u32_e32 vcc, s23, v1
	v_cndmask_b32_e64 v5, v8, v5, s[0:1]
	v_cndmask_b32_e64 v8, 0, -1, vcc
	v_cmp_le_u32_e32 vcc, s22, v4
	v_cndmask_b32_e64 v9, 0, -1, vcc
	v_cmp_eq_u32_e32 vcc, s23, v1
	v_cndmask_b32_e32 v8, v8, v9, vcc
	v_cmp_ne_u32_e32 vcc, 0, v8
	v_cndmask_b32_e32 v1, v1, v5, vcc
	v_cndmask_b32_e64 v5, v7, v6, s[0:1]
	v_cndmask_b32_e32 v4, v4, v5, vcc
	v_subrev_co_u32_e32 v8, vcc, 0, v4
	v_subbrev_co_u32_e32 v9, vcc, 0, v1, vcc
.LBB67_8:
	s_andn2_saveexec_b64 s[0:1], s[20:21]
	s_cbranch_execz .LBB67_10
; %bb.9:
	v_cvt_f32_u32_e32 v1, s14
	s_sub_i32 s2, 0, s14
	v_mov_b32_e32 v9, 0
	v_rcp_iflag_f32_e32 v1, v1
	v_mul_f32_e32 v1, 0x4f7ffffe, v1
	v_cvt_u32_f32_e32 v1, v1
	v_mul_lo_u32 v4, s2, v1
	v_mul_hi_u32 v4, v1, v4
	v_add_u32_e32 v1, v1, v4
	v_mul_hi_u32 v1, v2, v1
	v_mul_lo_u32 v1, v1, s14
	v_sub_u32_e32 v1, v2, v1
	v_subrev_u32_e32 v4, s14, v1
	v_cmp_le_u32_e32 vcc, s14, v1
	v_cndmask_b32_e32 v1, v1, v4, vcc
	v_subrev_u32_e32 v4, s14, v1
	v_cmp_le_u32_e32 vcc, s14, v1
	v_cndmask_b32_e32 v8, v1, v4, vcc
.LBB67_10:
	s_or_b64 exec, exec, s[0:1]
	v_lshlrev_b64 v[4:5], 3, v[2:3]
	v_mov_b32_e32 v1, s7
	v_add_co_u32_e32 v4, vcc, s6, v4
	v_addc_co_u32_e32 v5, vcc, v1, v5, vcc
	global_load_dwordx2 v[4:5], v[4:5], off
	s_mov_b64 s[22:23], -1
	s_waitcnt vmcnt(0)
	v_subrev_co_u32_e32 v4, vcc, s18, v4
	v_subbrev_co_u32_e32 v5, vcc, 0, v5, vcc
	v_cmp_lt_i64_e32 vcc, -1, v[4:5]
	s_and_b64 exec, exec, vcc
	s_cbranch_execz .LBB67_32
; %bb.11:
	s_load_dwordx4 s[0:3], s[4:5], 0x0
	s_load_dwordx2 s[6:7], s[4:5], 0x40
	s_waitcnt lgkmcnt(0)
	s_cmp_eq_u32 s2, 1
	s_cselect_b64 s[14:15], -1, 0
	s_cmpk_eq_i32 s0, 0x6f
	s_cselect_b64 s[18:19], -1, 0
	s_cmpk_lg_i32 s0, 0x6f
	s_cselect_b64 s[20:21], -1, 0
	s_cmp_lg_u32 s2, 1
	s_cbranch_scc0 .LBB67_15
; %bb.12:
	s_andn2_b64 vcc, exec, s[18:19]
	v_pk_mov_b32 v[6:7], v[8:9], v[8:9] op_sel:[0,1]
	s_cbranch_vccnz .LBB67_14
; %bb.13:
	v_mul_lo_u32 v1, v9, s6
	v_mul_lo_u32 v10, v8, s7
	v_mad_u64_u32 v[6:7], s[22:23], v8, s6, 0
	v_add3_u32 v7, v7, v10, v1
.LBB67_14:
	s_cbranch_execz .LBB67_16
	s_branch .LBB67_19
.LBB67_15:
                                        ; implicit-def: $vgpr6_vgpr7
	s_andn2_b64 vcc, exec, s[22:23]
	s_cbranch_vccnz .LBB67_19
.LBB67_16:
	s_andn2_b64 vcc, exec, s[20:21]
	s_cbranch_vccnz .LBB67_18
; %bb.17:
	v_mul_lo_u32 v1, v9, s6
	v_mul_lo_u32 v6, v8, s7
	v_mad_u64_u32 v[8:9], s[20:21], v8, s6, 0
	v_add3_u32 v9, v9, v6, v1
.LBB67_18:
	v_pk_mov_b32 v[6:7], v[8:9], v[8:9] op_sel:[0,1]
.LBB67_19:
	s_cmp_eq_u32 s3, 1
	s_cselect_b64 s[20:21], -1, 0
	s_cmpk_eq_i32 s1, 0x6f
	s_cselect_b64 s[22:23], -1, 0
	s_cmpk_lg_i32 s1, 0x6f
	s_cselect_b64 s[0:1], -1, 0
	s_cmp_lg_u32 s3, 1
	s_cbranch_scc0 .LBB67_23
; %bb.20:
	s_andn2_b64 vcc, exec, s[0:1]
	v_pk_mov_b32 v[8:9], v[4:5], v[4:5] op_sel:[0,1]
	s_cbranch_vccnz .LBB67_22
; %bb.21:
	v_mul_lo_u32 v1, v5, s8
	v_mul_lo_u32 v10, v4, s9
	v_mad_u64_u32 v[8:9], s[0:1], v4, s8, 0
	v_add3_u32 v9, v9, v10, v1
.LBB67_22:
	s_cbranch_execz .LBB67_24
	s_branch .LBB67_27
.LBB67_23:
                                        ; implicit-def: $vgpr8_vgpr9
.LBB67_24:
	s_andn2_b64 vcc, exec, s[22:23]
	s_cbranch_vccnz .LBB67_26
; %bb.25:
	v_mul_lo_u32 v1, v5, s8
	v_mul_lo_u32 v8, v4, s9
	v_mad_u64_u32 v[4:5], s[0:1], v4, s8, 0
	v_add3_u32 v5, v5, v8, v1
.LBB67_26:
	v_pk_mov_b32 v[8:9], v[4:5], v[4:5] op_sel:[0,1]
.LBB67_27:
	s_load_dwordx2 s[0:1], s[4:5], 0x60
	v_cmp_lt_i64_e64 s[2:3], s[12:13], 1
	s_and_b64 vcc, exec, s[2:3]
	s_cbranch_vccnz .LBB67_30
; %bb.28:
	s_load_dwordx2 s[2:3], s[4:5], 0x48
	s_load_dwordx2 s[24:25], s[4:5], 0x38
	v_lshlrev_b64 v[4:5], 1, v[8:9]
	v_lshlrev_b64 v[6:7], 1, v[6:7]
	s_waitcnt lgkmcnt(0)
	v_mov_b32_e32 v1, s3
	v_add_co_u32_e32 v4, vcc, s2, v4
	s_xor_b64 s[2:3], s[18:19], s[14:15]
	s_and_b64 s[2:3], s[2:3], exec
	s_cselect_b32 s5, 0, s7
	s_cselect_b32 s4, 1, s6
	s_xor_b64 s[2:3], s[22:23], s[20:21]
	s_and_b64 s[2:3], s[2:3], exec
	v_addc_co_u32_e32 v5, vcc, v1, v5, vcc
	s_cselect_b32 s3, s9, 0
	s_cselect_b32 s2, s8, 1
	v_mov_b32_e32 v1, s25
	v_add_co_u32_e32 v6, vcc, s24, v6
	s_lshl_b64 s[2:3], s[2:3], 1
	s_lshl_b64 s[4:5], s[4:5], 1
	v_addc_co_u32_e32 v7, vcc, v1, v7, vcc
	v_mov_b32_e32 v1, 0
	v_mov_b32_e32 v8, s3
	v_mov_b32_e32 v9, s5
.LBB67_29:                              ; =>This Inner Loop Header: Depth=1
	global_load_ushort v10, v[6:7], off
	global_load_ushort v11, v[4:5], off
	v_add_co_u32_e32 v4, vcc, s2, v4
	s_add_u32 s12, s12, -1
	v_addc_co_u32_e32 v5, vcc, v5, v8, vcc
	v_add_co_u32_e32 v6, vcc, s4, v6
	s_addc_u32 s13, s13, -1
	v_addc_co_u32_e32 v7, vcc, v7, v9, vcc
	s_cmp_eq_u64 s[12:13], 0
	s_waitcnt vmcnt(0)
	v_mul_f16_e32 v10, v10, v11
	v_cvt_f32_f16_e32 v10, v10
	v_add_f32_e32 v1, v1, v10
	s_cbranch_scc0 .LBB67_29
	s_branch .LBB67_31
.LBB67_30:
	v_mov_b32_e32 v1, 0
.LBB67_31:
	v_lshlrev_b32_e32 v4, 2, v0
	ds_write_b32 v4, v1
	v_lshlrev_b64 v[0:1], 2, v[2:3]
	s_waitcnt lgkmcnt(0)
	v_mov_b32_e32 v2, s1
	v_add_co_u32_e32 v0, vcc, s0, v0
	v_addc_co_u32_e32 v1, vcc, v2, v1, vcc
	s_barrier
	global_load_dword v2, v[0:1], off
	ds_read_b32 v3, v4
	s_waitcnt lgkmcnt(0)
	v_mul_f32_e32 v3, s16, v3
	s_waitcnt vmcnt(0)
	v_fmac_f32_e32 v3, s10, v2
	global_store_dword v[0:1], v3, off
.LBB67_32:
	s_endpgm
	.section	.rodata,"a",@progbits
	.p2align	6, 0x0
	.amdhsa_kernel _ZN9rocsparseL16sddmm_ell_kernelILi512ELi1EfllDF16_DF16_fEEv20rocsparse_operation_S1_16rocsparse_order_S2_T3_S3_S3_T2_NS_24const_host_device_scalarIT1_EEPKT4_lPKT5_lS7_PT6_PKS3_21rocsparse_index_base_b
		.amdhsa_group_segment_fixed_size 2048
		.amdhsa_private_segment_fixed_size 0
		.amdhsa_kernarg_size 120
		.amdhsa_user_sgpr_count 6
		.amdhsa_user_sgpr_private_segment_buffer 1
		.amdhsa_user_sgpr_dispatch_ptr 0
		.amdhsa_user_sgpr_queue_ptr 0
		.amdhsa_user_sgpr_kernarg_segment_ptr 1
		.amdhsa_user_sgpr_dispatch_id 0
		.amdhsa_user_sgpr_flat_scratch_init 0
		.amdhsa_user_sgpr_kernarg_preload_length 0
		.amdhsa_user_sgpr_kernarg_preload_offset 0
		.amdhsa_user_sgpr_private_segment_size 0
		.amdhsa_uses_dynamic_stack 0
		.amdhsa_system_sgpr_private_segment_wavefront_offset 0
		.amdhsa_system_sgpr_workgroup_id_x 1
		.amdhsa_system_sgpr_workgroup_id_y 0
		.amdhsa_system_sgpr_workgroup_id_z 0
		.amdhsa_system_sgpr_workgroup_info 0
		.amdhsa_system_vgpr_workitem_id 0
		.amdhsa_next_free_vgpr 12
		.amdhsa_next_free_sgpr 26
		.amdhsa_accum_offset 12
		.amdhsa_reserve_vcc 1
		.amdhsa_reserve_flat_scratch 0
		.amdhsa_float_round_mode_32 0
		.amdhsa_float_round_mode_16_64 0
		.amdhsa_float_denorm_mode_32 3
		.amdhsa_float_denorm_mode_16_64 3
		.amdhsa_dx10_clamp 1
		.amdhsa_ieee_mode 1
		.amdhsa_fp16_overflow 0
		.amdhsa_tg_split 0
		.amdhsa_exception_fp_ieee_invalid_op 0
		.amdhsa_exception_fp_denorm_src 0
		.amdhsa_exception_fp_ieee_div_zero 0
		.amdhsa_exception_fp_ieee_overflow 0
		.amdhsa_exception_fp_ieee_underflow 0
		.amdhsa_exception_fp_ieee_inexact 0
		.amdhsa_exception_int_div_zero 0
	.end_amdhsa_kernel
	.section	.text._ZN9rocsparseL16sddmm_ell_kernelILi512ELi1EfllDF16_DF16_fEEv20rocsparse_operation_S1_16rocsparse_order_S2_T3_S3_S3_T2_NS_24const_host_device_scalarIT1_EEPKT4_lPKT5_lS7_PT6_PKS3_21rocsparse_index_base_b,"axG",@progbits,_ZN9rocsparseL16sddmm_ell_kernelILi512ELi1EfllDF16_DF16_fEEv20rocsparse_operation_S1_16rocsparse_order_S2_T3_S3_S3_T2_NS_24const_host_device_scalarIT1_EEPKT4_lPKT5_lS7_PT6_PKS3_21rocsparse_index_base_b,comdat
.Lfunc_end67:
	.size	_ZN9rocsparseL16sddmm_ell_kernelILi512ELi1EfllDF16_DF16_fEEv20rocsparse_operation_S1_16rocsparse_order_S2_T3_S3_S3_T2_NS_24const_host_device_scalarIT1_EEPKT4_lPKT5_lS7_PT6_PKS3_21rocsparse_index_base_b, .Lfunc_end67-_ZN9rocsparseL16sddmm_ell_kernelILi512ELi1EfllDF16_DF16_fEEv20rocsparse_operation_S1_16rocsparse_order_S2_T3_S3_S3_T2_NS_24const_host_device_scalarIT1_EEPKT4_lPKT5_lS7_PT6_PKS3_21rocsparse_index_base_b
                                        ; -- End function
	.section	.AMDGPU.csdata,"",@progbits
; Kernel info:
; codeLenInByte = 1576
; NumSgprs: 30
; NumVgprs: 12
; NumAgprs: 0
; TotalNumVgprs: 12
; ScratchSize: 0
; MemoryBound: 0
; FloatMode: 240
; IeeeMode: 1
; LDSByteSize: 2048 bytes/workgroup (compile time only)
; SGPRBlocks: 3
; VGPRBlocks: 1
; NumSGPRsForWavesPerEU: 30
; NumVGPRsForWavesPerEU: 12
; AccumOffset: 12
; Occupancy: 8
; WaveLimiterHint : 0
; COMPUTE_PGM_RSRC2:SCRATCH_EN: 0
; COMPUTE_PGM_RSRC2:USER_SGPR: 6
; COMPUTE_PGM_RSRC2:TRAP_HANDLER: 0
; COMPUTE_PGM_RSRC2:TGID_X_EN: 1
; COMPUTE_PGM_RSRC2:TGID_Y_EN: 0
; COMPUTE_PGM_RSRC2:TGID_Z_EN: 0
; COMPUTE_PGM_RSRC2:TIDIG_COMP_CNT: 0
; COMPUTE_PGM_RSRC3_GFX90A:ACCUM_OFFSET: 2
; COMPUTE_PGM_RSRC3_GFX90A:TG_SPLIT: 0
	.text
	.p2alignl 6, 3212836864
	.fill 256, 4, 3212836864
	.type	__hip_cuid_5b586df3c6b44581,@object ; @__hip_cuid_5b586df3c6b44581
	.section	.bss,"aw",@nobits
	.globl	__hip_cuid_5b586df3c6b44581
__hip_cuid_5b586df3c6b44581:
	.byte	0                               ; 0x0
	.size	__hip_cuid_5b586df3c6b44581, 1

	.ident	"AMD clang version 19.0.0git (https://github.com/RadeonOpenCompute/llvm-project roc-6.4.0 25133 c7fe45cf4b819c5991fe208aaa96edf142730f1d)"
	.section	".note.GNU-stack","",@progbits
	.addrsig
	.addrsig_sym __hip_cuid_5b586df3c6b44581
	.amdgpu_metadata
---
amdhsa.kernels:
  - .agpr_count:     0
    .args:
      - .offset:         0
        .size:           4
        .value_kind:     by_value
      - .offset:         4
        .size:           4
        .value_kind:     by_value
      - .actual_access:  read_only
        .address_space:  global
        .offset:         8
        .size:           8
        .value_kind:     global_buffer
      - .offset:         16
        .size:           8
        .value_kind:     by_value
      - .offset:         24
        .size:           4
        .value_kind:     by_value
      - .actual_access:  write_only
        .address_space:  global
        .offset:         32
        .size:           8
        .value_kind:     global_buffer
      - .actual_access:  read_only
        .address_space:  global
        .offset:         40
        .size:           8
        .value_kind:     global_buffer
      - .offset:         48
        .size:           4
        .value_kind:     by_value
    .group_segment_fixed_size: 0
    .kernarg_segment_align: 8
    .kernarg_segment_size: 52
    .language:       OpenCL C
    .language_version:
      - 2
      - 0
    .max_flat_workgroup_size: 512
    .name:           _ZN9rocsparseL23sddmm_ell_sample_kernelILi16ELi32EDF16_iDF16_EEvT2_S1_PKT3_lS1_PS2_PKS1_21rocsparse_index_base_
    .private_segment_fixed_size: 0
    .sgpr_count:     24
    .sgpr_spill_count: 0
    .symbol:         _ZN9rocsparseL23sddmm_ell_sample_kernelILi16ELi32EDF16_iDF16_EEvT2_S1_PKT3_lS1_PS2_PKS1_21rocsparse_index_base_.kd
    .uniform_work_group_size: 1
    .uses_dynamic_stack: false
    .vgpr_count:     12
    .vgpr_spill_count: 0
    .wavefront_size: 64
  - .agpr_count:     0
    .args:
      - .offset:         0
        .size:           4
        .value_kind:     by_value
      - .offset:         4
        .size:           4
        .value_kind:     by_value
      - .actual_access:  read_only
        .address_space:  global
        .offset:         8
        .size:           8
        .value_kind:     global_buffer
      - .offset:         16
        .size:           8
        .value_kind:     by_value
      - .offset:         24
        .size:           4
        .value_kind:     by_value
      - .actual_access:  write_only
        .address_space:  global
        .offset:         32
        .size:           8
        .value_kind:     global_buffer
      - .actual_access:  read_only
        .address_space:  global
        .offset:         40
        .size:           8
        .value_kind:     global_buffer
      - .offset:         48
        .size:           4
        .value_kind:     by_value
    .group_segment_fixed_size: 0
    .kernarg_segment_align: 8
    .kernarg_segment_size: 52
    .language:       OpenCL C
    .language_version:
      - 2
      - 0
    .max_flat_workgroup_size: 1024
    .name:           _ZN9rocsparseL23sddmm_ell_sample_kernelILi16ELi64EDF16_iDF16_EEvT2_S1_PKT3_lS1_PS2_PKS1_21rocsparse_index_base_
    .private_segment_fixed_size: 0
    .sgpr_count:     24
    .sgpr_spill_count: 0
    .symbol:         _ZN9rocsparseL23sddmm_ell_sample_kernelILi16ELi64EDF16_iDF16_EEvT2_S1_PKT3_lS1_PS2_PKS1_21rocsparse_index_base_.kd
    .uniform_work_group_size: 1
    .uses_dynamic_stack: false
    .vgpr_count:     12
    .vgpr_spill_count: 0
    .wavefront_size: 64
  - .agpr_count:     0
    .args:
      - .offset:         0
        .size:           4
        .value_kind:     by_value
      - .offset:         4
        .size:           4
        .value_kind:     by_value
      - .offset:         8
        .size:           4
        .value_kind:     by_value
      - .offset:         12
        .size:           4
        .value_kind:     by_value
      - .offset:         16
        .size:           4
        .value_kind:     by_value
      - .offset:         20
        .size:           4
        .value_kind:     by_value
      - .offset:         24
        .size:           4
        .value_kind:     by_value
      - .offset:         28
        .size:           4
        .value_kind:     by_value
      - .offset:         32
        .size:           8
        .value_kind:     by_value
      - .actual_access:  read_only
        .address_space:  global
        .offset:         40
        .size:           8
        .value_kind:     global_buffer
      - .offset:         48
        .size:           8
        .value_kind:     by_value
      - .actual_access:  read_only
        .address_space:  global
        .offset:         56
        .size:           8
        .value_kind:     global_buffer
      - .offset:         64
        .size:           8
        .value_kind:     by_value
      - .offset:         72
        .size:           8
        .value_kind:     by_value
      - .address_space:  global
        .offset:         80
        .size:           8
        .value_kind:     global_buffer
      - .actual_access:  read_only
        .address_space:  global
        .offset:         88
        .size:           8
        .value_kind:     global_buffer
      - .offset:         96
        .size:           4
        .value_kind:     by_value
      - .offset:         100
        .size:           1
        .value_kind:     by_value
    .group_segment_fixed_size: 1024
    .kernarg_segment_align: 8
    .kernarg_segment_size: 104
    .language:       OpenCL C
    .language_version:
      - 2
      - 0
    .max_flat_workgroup_size: 512
    .name:           _ZN9rocsparseL16sddmm_ell_kernelILi512ELi8EDF16_iiDF16_DF16_DF16_EEv20rocsparse_operation_S1_16rocsparse_order_S2_T3_S3_S3_T2_NS_24const_host_device_scalarIT1_EEPKT4_lPKT5_lS7_PT6_PKS3_21rocsparse_index_base_b
    .private_segment_fixed_size: 0
    .sgpr_count:     28
    .sgpr_spill_count: 0
    .symbol:         _ZN9rocsparseL16sddmm_ell_kernelILi512ELi8EDF16_iiDF16_DF16_DF16_EEv20rocsparse_operation_S1_16rocsparse_order_S2_T3_S3_S3_T2_NS_24const_host_device_scalarIT1_EEPKT4_lPKT5_lS7_PT6_PKS3_21rocsparse_index_base_b.kd
    .uniform_work_group_size: 1
    .uses_dynamic_stack: false
    .vgpr_count:     16
    .vgpr_spill_count: 0
    .wavefront_size: 64
  - .agpr_count:     0
    .args:
      - .offset:         0
        .size:           4
        .value_kind:     by_value
      - .offset:         4
        .size:           4
        .value_kind:     by_value
      - .offset:         8
        .size:           4
        .value_kind:     by_value
      - .offset:         12
        .size:           4
        .value_kind:     by_value
      - .offset:         16
        .size:           4
        .value_kind:     by_value
      - .offset:         20
        .size:           4
        .value_kind:     by_value
      - .offset:         24
        .size:           4
        .value_kind:     by_value
      - .offset:         28
        .size:           4
        .value_kind:     by_value
      - .offset:         32
        .size:           8
        .value_kind:     by_value
      - .actual_access:  read_only
        .address_space:  global
        .offset:         40
        .size:           8
        .value_kind:     global_buffer
      - .offset:         48
        .size:           8
        .value_kind:     by_value
      - .actual_access:  read_only
        .address_space:  global
        .offset:         56
        .size:           8
        .value_kind:     global_buffer
      - .offset:         64
        .size:           8
        .value_kind:     by_value
      - .offset:         72
        .size:           8
        .value_kind:     by_value
      - .address_space:  global
        .offset:         80
        .size:           8
        .value_kind:     global_buffer
      - .actual_access:  read_only
        .address_space:  global
        .offset:         88
        .size:           8
        .value_kind:     global_buffer
      - .offset:         96
        .size:           4
        .value_kind:     by_value
      - .offset:         100
        .size:           1
        .value_kind:     by_value
    .group_segment_fixed_size: 1024
    .kernarg_segment_align: 8
    .kernarg_segment_size: 104
    .language:       OpenCL C
    .language_version:
      - 2
      - 0
    .max_flat_workgroup_size: 512
    .name:           _ZN9rocsparseL16sddmm_ell_kernelILi512ELi4EDF16_iiDF16_DF16_DF16_EEv20rocsparse_operation_S1_16rocsparse_order_S2_T3_S3_S3_T2_NS_24const_host_device_scalarIT1_EEPKT4_lPKT5_lS7_PT6_PKS3_21rocsparse_index_base_b
    .private_segment_fixed_size: 0
    .sgpr_count:     28
    .sgpr_spill_count: 0
    .symbol:         _ZN9rocsparseL16sddmm_ell_kernelILi512ELi4EDF16_iiDF16_DF16_DF16_EEv20rocsparse_operation_S1_16rocsparse_order_S2_T3_S3_S3_T2_NS_24const_host_device_scalarIT1_EEPKT4_lPKT5_lS7_PT6_PKS3_21rocsparse_index_base_b.kd
    .uniform_work_group_size: 1
    .uses_dynamic_stack: false
    .vgpr_count:     16
    .vgpr_spill_count: 0
    .wavefront_size: 64
  - .agpr_count:     0
    .args:
      - .offset:         0
        .size:           4
        .value_kind:     by_value
      - .offset:         4
        .size:           4
        .value_kind:     by_value
      - .offset:         8
        .size:           4
        .value_kind:     by_value
      - .offset:         12
        .size:           4
        .value_kind:     by_value
      - .offset:         16
        .size:           4
        .value_kind:     by_value
      - .offset:         20
        .size:           4
        .value_kind:     by_value
      - .offset:         24
        .size:           4
        .value_kind:     by_value
      - .offset:         28
        .size:           4
        .value_kind:     by_value
      - .offset:         32
        .size:           8
        .value_kind:     by_value
      - .actual_access:  read_only
        .address_space:  global
        .offset:         40
        .size:           8
        .value_kind:     global_buffer
      - .offset:         48
        .size:           8
        .value_kind:     by_value
      - .actual_access:  read_only
        .address_space:  global
        .offset:         56
        .size:           8
        .value_kind:     global_buffer
      - .offset:         64
        .size:           8
        .value_kind:     by_value
      - .offset:         72
        .size:           8
        .value_kind:     by_value
      - .address_space:  global
        .offset:         80
        .size:           8
        .value_kind:     global_buffer
      - .actual_access:  read_only
        .address_space:  global
        .offset:         88
        .size:           8
        .value_kind:     global_buffer
      - .offset:         96
        .size:           4
        .value_kind:     by_value
      - .offset:         100
        .size:           1
        .value_kind:     by_value
    .group_segment_fixed_size: 1024
    .kernarg_segment_align: 8
    .kernarg_segment_size: 104
    .language:       OpenCL C
    .language_version:
      - 2
      - 0
    .max_flat_workgroup_size: 512
    .name:           _ZN9rocsparseL16sddmm_ell_kernelILi512ELi2EDF16_iiDF16_DF16_DF16_EEv20rocsparse_operation_S1_16rocsparse_order_S2_T3_S3_S3_T2_NS_24const_host_device_scalarIT1_EEPKT4_lPKT5_lS7_PT6_PKS3_21rocsparse_index_base_b
    .private_segment_fixed_size: 0
    .sgpr_count:     28
    .sgpr_spill_count: 0
    .symbol:         _ZN9rocsparseL16sddmm_ell_kernelILi512ELi2EDF16_iiDF16_DF16_DF16_EEv20rocsparse_operation_S1_16rocsparse_order_S2_T3_S3_S3_T2_NS_24const_host_device_scalarIT1_EEPKT4_lPKT5_lS7_PT6_PKS3_21rocsparse_index_base_b.kd
    .uniform_work_group_size: 1
    .uses_dynamic_stack: false
    .vgpr_count:     16
    .vgpr_spill_count: 0
    .wavefront_size: 64
  - .agpr_count:     0
    .args:
      - .offset:         0
        .size:           4
        .value_kind:     by_value
      - .offset:         4
        .size:           4
        .value_kind:     by_value
      - .offset:         8
        .size:           4
        .value_kind:     by_value
      - .offset:         12
        .size:           4
        .value_kind:     by_value
      - .offset:         16
        .size:           4
        .value_kind:     by_value
      - .offset:         20
        .size:           4
        .value_kind:     by_value
      - .offset:         24
        .size:           4
        .value_kind:     by_value
      - .offset:         28
        .size:           4
        .value_kind:     by_value
      - .offset:         32
        .size:           8
        .value_kind:     by_value
      - .actual_access:  read_only
        .address_space:  global
        .offset:         40
        .size:           8
        .value_kind:     global_buffer
      - .offset:         48
        .size:           8
        .value_kind:     by_value
      - .actual_access:  read_only
        .address_space:  global
        .offset:         56
        .size:           8
        .value_kind:     global_buffer
      - .offset:         64
        .size:           8
        .value_kind:     by_value
      - .offset:         72
        .size:           8
        .value_kind:     by_value
      - .address_space:  global
        .offset:         80
        .size:           8
        .value_kind:     global_buffer
      - .actual_access:  read_only
        .address_space:  global
        .offset:         88
        .size:           8
        .value_kind:     global_buffer
      - .offset:         96
        .size:           4
        .value_kind:     by_value
      - .offset:         100
        .size:           1
        .value_kind:     by_value
    .group_segment_fixed_size: 1024
    .kernarg_segment_align: 8
    .kernarg_segment_size: 104
    .language:       OpenCL C
    .language_version:
      - 2
      - 0
    .max_flat_workgroup_size: 512
    .name:           _ZN9rocsparseL16sddmm_ell_kernelILi512ELi1EDF16_iiDF16_DF16_DF16_EEv20rocsparse_operation_S1_16rocsparse_order_S2_T3_S3_S3_T2_NS_24const_host_device_scalarIT1_EEPKT4_lPKT5_lS7_PT6_PKS3_21rocsparse_index_base_b
    .private_segment_fixed_size: 0
    .sgpr_count:     26
    .sgpr_spill_count: 0
    .symbol:         _ZN9rocsparseL16sddmm_ell_kernelILi512ELi1EDF16_iiDF16_DF16_DF16_EEv20rocsparse_operation_S1_16rocsparse_order_S2_T3_S3_S3_T2_NS_24const_host_device_scalarIT1_EEPKT4_lPKT5_lS7_PT6_PKS3_21rocsparse_index_base_b.kd
    .uniform_work_group_size: 1
    .uses_dynamic_stack: false
    .vgpr_count:     14
    .vgpr_spill_count: 0
    .wavefront_size: 64
  - .agpr_count:     0
    .args:
      - .offset:         0
        .size:           4
        .value_kind:     by_value
      - .offset:         4
        .size:           4
        .value_kind:     by_value
      - .actual_access:  read_only
        .address_space:  global
        .offset:         8
        .size:           8
        .value_kind:     global_buffer
      - .offset:         16
        .size:           8
        .value_kind:     by_value
      - .offset:         24
        .size:           4
        .value_kind:     by_value
      - .actual_access:  write_only
        .address_space:  global
        .offset:         32
        .size:           8
        .value_kind:     global_buffer
      - .actual_access:  read_only
        .address_space:  global
        .offset:         40
        .size:           8
        .value_kind:     global_buffer
      - .offset:         48
        .size:           4
        .value_kind:     by_value
    .group_segment_fixed_size: 0
    .kernarg_segment_align: 8
    .kernarg_segment_size: 52
    .language:       OpenCL C
    .language_version:
      - 2
      - 0
    .max_flat_workgroup_size: 512
    .name:           _ZN9rocsparseL23sddmm_ell_sample_kernelILi16ELi32EfifEEvT2_S1_PKT3_lS1_PS2_PKS1_21rocsparse_index_base_
    .private_segment_fixed_size: 0
    .sgpr_count:     24
    .sgpr_spill_count: 0
    .symbol:         _ZN9rocsparseL23sddmm_ell_sample_kernelILi16ELi32EfifEEvT2_S1_PKT3_lS1_PS2_PKS1_21rocsparse_index_base_.kd
    .uniform_work_group_size: 1
    .uses_dynamic_stack: false
    .vgpr_count:     14
    .vgpr_spill_count: 0
    .wavefront_size: 64
  - .agpr_count:     0
    .args:
      - .offset:         0
        .size:           4
        .value_kind:     by_value
      - .offset:         4
        .size:           4
        .value_kind:     by_value
      - .actual_access:  read_only
        .address_space:  global
        .offset:         8
        .size:           8
        .value_kind:     global_buffer
      - .offset:         16
        .size:           8
        .value_kind:     by_value
      - .offset:         24
        .size:           4
        .value_kind:     by_value
      - .actual_access:  write_only
        .address_space:  global
        .offset:         32
        .size:           8
        .value_kind:     global_buffer
      - .actual_access:  read_only
        .address_space:  global
        .offset:         40
        .size:           8
        .value_kind:     global_buffer
      - .offset:         48
        .size:           4
        .value_kind:     by_value
    .group_segment_fixed_size: 0
    .kernarg_segment_align: 8
    .kernarg_segment_size: 52
    .language:       OpenCL C
    .language_version:
      - 2
      - 0
    .max_flat_workgroup_size: 1024
    .name:           _ZN9rocsparseL23sddmm_ell_sample_kernelILi16ELi64EfifEEvT2_S1_PKT3_lS1_PS2_PKS1_21rocsparse_index_base_
    .private_segment_fixed_size: 0
    .sgpr_count:     24
    .sgpr_spill_count: 0
    .symbol:         _ZN9rocsparseL23sddmm_ell_sample_kernelILi16ELi64EfifEEvT2_S1_PKT3_lS1_PS2_PKS1_21rocsparse_index_base_.kd
    .uniform_work_group_size: 1
    .uses_dynamic_stack: false
    .vgpr_count:     14
    .vgpr_spill_count: 0
    .wavefront_size: 64
  - .agpr_count:     0
    .args:
      - .offset:         0
        .size:           4
        .value_kind:     by_value
      - .offset:         4
        .size:           4
        .value_kind:     by_value
      - .offset:         8
        .size:           4
        .value_kind:     by_value
      - .offset:         12
        .size:           4
        .value_kind:     by_value
      - .offset:         16
        .size:           4
        .value_kind:     by_value
      - .offset:         20
        .size:           4
        .value_kind:     by_value
      - .offset:         24
        .size:           4
        .value_kind:     by_value
      - .offset:         28
        .size:           4
        .value_kind:     by_value
      - .offset:         32
        .size:           8
        .value_kind:     by_value
      - .actual_access:  read_only
        .address_space:  global
        .offset:         40
        .size:           8
        .value_kind:     global_buffer
      - .offset:         48
        .size:           8
        .value_kind:     by_value
      - .actual_access:  read_only
        .address_space:  global
        .offset:         56
        .size:           8
        .value_kind:     global_buffer
      - .offset:         64
        .size:           8
        .value_kind:     by_value
      - .offset:         72
        .size:           8
        .value_kind:     by_value
      - .address_space:  global
        .offset:         80
        .size:           8
        .value_kind:     global_buffer
      - .actual_access:  read_only
        .address_space:  global
        .offset:         88
        .size:           8
        .value_kind:     global_buffer
      - .offset:         96
        .size:           4
        .value_kind:     by_value
      - .offset:         100
        .size:           1
        .value_kind:     by_value
    .group_segment_fixed_size: 2048
    .kernarg_segment_align: 8
    .kernarg_segment_size: 104
    .language:       OpenCL C
    .language_version:
      - 2
      - 0
    .max_flat_workgroup_size: 512
    .name:           _ZN9rocsparseL16sddmm_ell_kernelILi512ELi8EfiifffEEv20rocsparse_operation_S1_16rocsparse_order_S2_T3_S3_S3_T2_NS_24const_host_device_scalarIT1_EEPKT4_lPKT5_lS7_PT6_PKS3_21rocsparse_index_base_b
    .private_segment_fixed_size: 0
    .sgpr_count:     32
    .sgpr_spill_count: 0
    .symbol:         _ZN9rocsparseL16sddmm_ell_kernelILi512ELi8EfiifffEEv20rocsparse_operation_S1_16rocsparse_order_S2_T3_S3_S3_T2_NS_24const_host_device_scalarIT1_EEPKT4_lPKT5_lS7_PT6_PKS3_21rocsparse_index_base_b.kd
    .uniform_work_group_size: 1
    .uses_dynamic_stack: false
    .vgpr_count:     14
    .vgpr_spill_count: 0
    .wavefront_size: 64
  - .agpr_count:     0
    .args:
      - .offset:         0
        .size:           4
        .value_kind:     by_value
      - .offset:         4
        .size:           4
        .value_kind:     by_value
      - .offset:         8
        .size:           4
        .value_kind:     by_value
      - .offset:         12
        .size:           4
        .value_kind:     by_value
      - .offset:         16
        .size:           4
        .value_kind:     by_value
      - .offset:         20
        .size:           4
        .value_kind:     by_value
      - .offset:         24
        .size:           4
        .value_kind:     by_value
      - .offset:         28
        .size:           4
        .value_kind:     by_value
      - .offset:         32
        .size:           8
        .value_kind:     by_value
      - .actual_access:  read_only
        .address_space:  global
        .offset:         40
        .size:           8
        .value_kind:     global_buffer
      - .offset:         48
        .size:           8
        .value_kind:     by_value
      - .actual_access:  read_only
        .address_space:  global
        .offset:         56
        .size:           8
        .value_kind:     global_buffer
      - .offset:         64
        .size:           8
        .value_kind:     by_value
      - .offset:         72
        .size:           8
        .value_kind:     by_value
      - .address_space:  global
        .offset:         80
        .size:           8
        .value_kind:     global_buffer
      - .actual_access:  read_only
        .address_space:  global
        .offset:         88
        .size:           8
        .value_kind:     global_buffer
      - .offset:         96
        .size:           4
        .value_kind:     by_value
      - .offset:         100
        .size:           1
        .value_kind:     by_value
    .group_segment_fixed_size: 2048
    .kernarg_segment_align: 8
    .kernarg_segment_size: 104
    .language:       OpenCL C
    .language_version:
      - 2
      - 0
    .max_flat_workgroup_size: 512
    .name:           _ZN9rocsparseL16sddmm_ell_kernelILi512ELi4EfiifffEEv20rocsparse_operation_S1_16rocsparse_order_S2_T3_S3_S3_T2_NS_24const_host_device_scalarIT1_EEPKT4_lPKT5_lS7_PT6_PKS3_21rocsparse_index_base_b
    .private_segment_fixed_size: 0
    .sgpr_count:     32
    .sgpr_spill_count: 0
    .symbol:         _ZN9rocsparseL16sddmm_ell_kernelILi512ELi4EfiifffEEv20rocsparse_operation_S1_16rocsparse_order_S2_T3_S3_S3_T2_NS_24const_host_device_scalarIT1_EEPKT4_lPKT5_lS7_PT6_PKS3_21rocsparse_index_base_b.kd
    .uniform_work_group_size: 1
    .uses_dynamic_stack: false
    .vgpr_count:     14
    .vgpr_spill_count: 0
    .wavefront_size: 64
  - .agpr_count:     0
    .args:
      - .offset:         0
        .size:           4
        .value_kind:     by_value
      - .offset:         4
        .size:           4
        .value_kind:     by_value
      - .offset:         8
        .size:           4
        .value_kind:     by_value
      - .offset:         12
        .size:           4
        .value_kind:     by_value
      - .offset:         16
        .size:           4
        .value_kind:     by_value
      - .offset:         20
        .size:           4
        .value_kind:     by_value
      - .offset:         24
        .size:           4
        .value_kind:     by_value
      - .offset:         28
        .size:           4
        .value_kind:     by_value
      - .offset:         32
        .size:           8
        .value_kind:     by_value
      - .actual_access:  read_only
        .address_space:  global
        .offset:         40
        .size:           8
        .value_kind:     global_buffer
      - .offset:         48
        .size:           8
        .value_kind:     by_value
      - .actual_access:  read_only
        .address_space:  global
        .offset:         56
        .size:           8
        .value_kind:     global_buffer
      - .offset:         64
        .size:           8
        .value_kind:     by_value
      - .offset:         72
        .size:           8
        .value_kind:     by_value
      - .address_space:  global
        .offset:         80
        .size:           8
        .value_kind:     global_buffer
      - .actual_access:  read_only
        .address_space:  global
        .offset:         88
        .size:           8
        .value_kind:     global_buffer
      - .offset:         96
        .size:           4
        .value_kind:     by_value
      - .offset:         100
        .size:           1
        .value_kind:     by_value
    .group_segment_fixed_size: 2048
    .kernarg_segment_align: 8
    .kernarg_segment_size: 104
    .language:       OpenCL C
    .language_version:
      - 2
      - 0
    .max_flat_workgroup_size: 512
    .name:           _ZN9rocsparseL16sddmm_ell_kernelILi512ELi2EfiifffEEv20rocsparse_operation_S1_16rocsparse_order_S2_T3_S3_S3_T2_NS_24const_host_device_scalarIT1_EEPKT4_lPKT5_lS7_PT6_PKS3_21rocsparse_index_base_b
    .private_segment_fixed_size: 0
    .sgpr_count:     32
    .sgpr_spill_count: 0
    .symbol:         _ZN9rocsparseL16sddmm_ell_kernelILi512ELi2EfiifffEEv20rocsparse_operation_S1_16rocsparse_order_S2_T3_S3_S3_T2_NS_24const_host_device_scalarIT1_EEPKT4_lPKT5_lS7_PT6_PKS3_21rocsparse_index_base_b.kd
    .uniform_work_group_size: 1
    .uses_dynamic_stack: false
    .vgpr_count:     14
    .vgpr_spill_count: 0
    .wavefront_size: 64
  - .agpr_count:     0
    .args:
      - .offset:         0
        .size:           4
        .value_kind:     by_value
      - .offset:         4
        .size:           4
        .value_kind:     by_value
      - .offset:         8
        .size:           4
        .value_kind:     by_value
      - .offset:         12
        .size:           4
        .value_kind:     by_value
      - .offset:         16
        .size:           4
        .value_kind:     by_value
      - .offset:         20
        .size:           4
        .value_kind:     by_value
      - .offset:         24
        .size:           4
        .value_kind:     by_value
      - .offset:         28
        .size:           4
        .value_kind:     by_value
      - .offset:         32
        .size:           8
        .value_kind:     by_value
      - .actual_access:  read_only
        .address_space:  global
        .offset:         40
        .size:           8
        .value_kind:     global_buffer
      - .offset:         48
        .size:           8
        .value_kind:     by_value
      - .actual_access:  read_only
        .address_space:  global
        .offset:         56
        .size:           8
        .value_kind:     global_buffer
      - .offset:         64
        .size:           8
        .value_kind:     by_value
      - .offset:         72
        .size:           8
        .value_kind:     by_value
      - .address_space:  global
        .offset:         80
        .size:           8
        .value_kind:     global_buffer
      - .actual_access:  read_only
        .address_space:  global
        .offset:         88
        .size:           8
        .value_kind:     global_buffer
      - .offset:         96
        .size:           4
        .value_kind:     by_value
      - .offset:         100
        .size:           1
        .value_kind:     by_value
    .group_segment_fixed_size: 2048
    .kernarg_segment_align: 8
    .kernarg_segment_size: 104
    .language:       OpenCL C
    .language_version:
      - 2
      - 0
    .max_flat_workgroup_size: 512
    .name:           _ZN9rocsparseL16sddmm_ell_kernelILi512ELi1EfiifffEEv20rocsparse_operation_S1_16rocsparse_order_S2_T3_S3_S3_T2_NS_24const_host_device_scalarIT1_EEPKT4_lPKT5_lS7_PT6_PKS3_21rocsparse_index_base_b
    .private_segment_fixed_size: 0
    .sgpr_count:     30
    .sgpr_spill_count: 0
    .symbol:         _ZN9rocsparseL16sddmm_ell_kernelILi512ELi1EfiifffEEv20rocsparse_operation_S1_16rocsparse_order_S2_T3_S3_S3_T2_NS_24const_host_device_scalarIT1_EEPKT4_lPKT5_lS7_PT6_PKS3_21rocsparse_index_base_b.kd
    .uniform_work_group_size: 1
    .uses_dynamic_stack: false
    .vgpr_count:     12
    .vgpr_spill_count: 0
    .wavefront_size: 64
  - .agpr_count:     0
    .args:
      - .offset:         0
        .size:           4
        .value_kind:     by_value
      - .offset:         4
        .size:           4
        .value_kind:     by_value
      - .actual_access:  read_only
        .address_space:  global
        .offset:         8
        .size:           8
        .value_kind:     global_buffer
      - .offset:         16
        .size:           8
        .value_kind:     by_value
      - .offset:         24
        .size:           4
        .value_kind:     by_value
      - .actual_access:  write_only
        .address_space:  global
        .offset:         32
        .size:           8
        .value_kind:     global_buffer
      - .actual_access:  read_only
        .address_space:  global
        .offset:         40
        .size:           8
        .value_kind:     global_buffer
      - .offset:         48
        .size:           4
        .value_kind:     by_value
    .group_segment_fixed_size: 0
    .kernarg_segment_align: 8
    .kernarg_segment_size: 52
    .language:       OpenCL C
    .language_version:
      - 2
      - 0
    .max_flat_workgroup_size: 512
    .name:           _ZN9rocsparseL23sddmm_ell_sample_kernelILi16ELi32EdidEEvT2_S1_PKT3_lS1_PS2_PKS1_21rocsparse_index_base_
    .private_segment_fixed_size: 0
    .sgpr_count:     24
    .sgpr_spill_count: 0
    .symbol:         _ZN9rocsparseL23sddmm_ell_sample_kernelILi16ELi32EdidEEvT2_S1_PKT3_lS1_PS2_PKS1_21rocsparse_index_base_.kd
    .uniform_work_group_size: 1
    .uses_dynamic_stack: false
    .vgpr_count:     12
    .vgpr_spill_count: 0
    .wavefront_size: 64
  - .agpr_count:     0
    .args:
      - .offset:         0
        .size:           4
        .value_kind:     by_value
      - .offset:         4
        .size:           4
        .value_kind:     by_value
      - .actual_access:  read_only
        .address_space:  global
        .offset:         8
        .size:           8
        .value_kind:     global_buffer
      - .offset:         16
        .size:           8
        .value_kind:     by_value
      - .offset:         24
        .size:           4
        .value_kind:     by_value
      - .actual_access:  write_only
        .address_space:  global
        .offset:         32
        .size:           8
        .value_kind:     global_buffer
      - .actual_access:  read_only
        .address_space:  global
        .offset:         40
        .size:           8
        .value_kind:     global_buffer
      - .offset:         48
        .size:           4
        .value_kind:     by_value
    .group_segment_fixed_size: 0
    .kernarg_segment_align: 8
    .kernarg_segment_size: 52
    .language:       OpenCL C
    .language_version:
      - 2
      - 0
    .max_flat_workgroup_size: 1024
    .name:           _ZN9rocsparseL23sddmm_ell_sample_kernelILi16ELi64EdidEEvT2_S1_PKT3_lS1_PS2_PKS1_21rocsparse_index_base_
    .private_segment_fixed_size: 0
    .sgpr_count:     24
    .sgpr_spill_count: 0
    .symbol:         _ZN9rocsparseL23sddmm_ell_sample_kernelILi16ELi64EdidEEvT2_S1_PKT3_lS1_PS2_PKS1_21rocsparse_index_base_.kd
    .uniform_work_group_size: 1
    .uses_dynamic_stack: false
    .vgpr_count:     12
    .vgpr_spill_count: 0
    .wavefront_size: 64
  - .agpr_count:     0
    .args:
      - .offset:         0
        .size:           4
        .value_kind:     by_value
      - .offset:         4
        .size:           4
        .value_kind:     by_value
      - .offset:         8
        .size:           4
        .value_kind:     by_value
      - .offset:         12
        .size:           4
        .value_kind:     by_value
      - .offset:         16
        .size:           4
        .value_kind:     by_value
      - .offset:         20
        .size:           4
        .value_kind:     by_value
      - .offset:         24
        .size:           4
        .value_kind:     by_value
      - .offset:         28
        .size:           4
        .value_kind:     by_value
      - .offset:         32
        .size:           8
        .value_kind:     by_value
      - .actual_access:  read_only
        .address_space:  global
        .offset:         40
        .size:           8
        .value_kind:     global_buffer
      - .offset:         48
        .size:           8
        .value_kind:     by_value
      - .actual_access:  read_only
        .address_space:  global
        .offset:         56
        .size:           8
        .value_kind:     global_buffer
      - .offset:         64
        .size:           8
        .value_kind:     by_value
      - .offset:         72
        .size:           8
        .value_kind:     by_value
      - .address_space:  global
        .offset:         80
        .size:           8
        .value_kind:     global_buffer
      - .actual_access:  read_only
        .address_space:  global
        .offset:         88
        .size:           8
        .value_kind:     global_buffer
      - .offset:         96
        .size:           4
        .value_kind:     by_value
      - .offset:         100
        .size:           1
        .value_kind:     by_value
    .group_segment_fixed_size: 4096
    .kernarg_segment_align: 8
    .kernarg_segment_size: 104
    .language:       OpenCL C
    .language_version:
      - 2
      - 0
    .max_flat_workgroup_size: 512
    .name:           _ZN9rocsparseL16sddmm_ell_kernelILi512ELi8EdiidddEEv20rocsparse_operation_S1_16rocsparse_order_S2_T3_S3_S3_T2_NS_24const_host_device_scalarIT1_EEPKT4_lPKT5_lS7_PT6_PKS3_21rocsparse_index_base_b
    .private_segment_fixed_size: 0
    .sgpr_count:     28
    .sgpr_spill_count: 0
    .symbol:         _ZN9rocsparseL16sddmm_ell_kernelILi512ELi8EdiidddEEv20rocsparse_operation_S1_16rocsparse_order_S2_T3_S3_S3_T2_NS_24const_host_device_scalarIT1_EEPKT4_lPKT5_lS7_PT6_PKS3_21rocsparse_index_base_b.kd
    .uniform_work_group_size: 1
    .uses_dynamic_stack: false
    .vgpr_count:     22
    .vgpr_spill_count: 0
    .wavefront_size: 64
  - .agpr_count:     0
    .args:
      - .offset:         0
        .size:           4
        .value_kind:     by_value
      - .offset:         4
        .size:           4
        .value_kind:     by_value
      - .offset:         8
        .size:           4
        .value_kind:     by_value
      - .offset:         12
        .size:           4
        .value_kind:     by_value
      - .offset:         16
        .size:           4
        .value_kind:     by_value
      - .offset:         20
        .size:           4
        .value_kind:     by_value
      - .offset:         24
        .size:           4
        .value_kind:     by_value
      - .offset:         28
        .size:           4
        .value_kind:     by_value
      - .offset:         32
        .size:           8
        .value_kind:     by_value
      - .actual_access:  read_only
        .address_space:  global
        .offset:         40
        .size:           8
        .value_kind:     global_buffer
      - .offset:         48
        .size:           8
        .value_kind:     by_value
      - .actual_access:  read_only
        .address_space:  global
        .offset:         56
        .size:           8
        .value_kind:     global_buffer
      - .offset:         64
        .size:           8
        .value_kind:     by_value
      - .offset:         72
        .size:           8
        .value_kind:     by_value
      - .address_space:  global
        .offset:         80
        .size:           8
        .value_kind:     global_buffer
      - .actual_access:  read_only
        .address_space:  global
        .offset:         88
        .size:           8
        .value_kind:     global_buffer
      - .offset:         96
        .size:           4
        .value_kind:     by_value
      - .offset:         100
        .size:           1
        .value_kind:     by_value
    .group_segment_fixed_size: 4096
    .kernarg_segment_align: 8
    .kernarg_segment_size: 104
    .language:       OpenCL C
    .language_version:
      - 2
      - 0
    .max_flat_workgroup_size: 512
    .name:           _ZN9rocsparseL16sddmm_ell_kernelILi512ELi4EdiidddEEv20rocsparse_operation_S1_16rocsparse_order_S2_T3_S3_S3_T2_NS_24const_host_device_scalarIT1_EEPKT4_lPKT5_lS7_PT6_PKS3_21rocsparse_index_base_b
    .private_segment_fixed_size: 0
    .sgpr_count:     28
    .sgpr_spill_count: 0
    .symbol:         _ZN9rocsparseL16sddmm_ell_kernelILi512ELi4EdiidddEEv20rocsparse_operation_S1_16rocsparse_order_S2_T3_S3_S3_T2_NS_24const_host_device_scalarIT1_EEPKT4_lPKT5_lS7_PT6_PKS3_21rocsparse_index_base_b.kd
    .uniform_work_group_size: 1
    .uses_dynamic_stack: false
    .vgpr_count:     22
    .vgpr_spill_count: 0
    .wavefront_size: 64
  - .agpr_count:     0
    .args:
      - .offset:         0
        .size:           4
        .value_kind:     by_value
      - .offset:         4
        .size:           4
        .value_kind:     by_value
      - .offset:         8
        .size:           4
        .value_kind:     by_value
      - .offset:         12
        .size:           4
        .value_kind:     by_value
      - .offset:         16
        .size:           4
        .value_kind:     by_value
      - .offset:         20
        .size:           4
        .value_kind:     by_value
      - .offset:         24
        .size:           4
        .value_kind:     by_value
      - .offset:         28
        .size:           4
        .value_kind:     by_value
      - .offset:         32
        .size:           8
        .value_kind:     by_value
      - .actual_access:  read_only
        .address_space:  global
        .offset:         40
        .size:           8
        .value_kind:     global_buffer
      - .offset:         48
        .size:           8
        .value_kind:     by_value
      - .actual_access:  read_only
        .address_space:  global
        .offset:         56
        .size:           8
        .value_kind:     global_buffer
      - .offset:         64
        .size:           8
        .value_kind:     by_value
      - .offset:         72
        .size:           8
        .value_kind:     by_value
      - .address_space:  global
        .offset:         80
        .size:           8
        .value_kind:     global_buffer
      - .actual_access:  read_only
        .address_space:  global
        .offset:         88
        .size:           8
        .value_kind:     global_buffer
      - .offset:         96
        .size:           4
        .value_kind:     by_value
      - .offset:         100
        .size:           1
        .value_kind:     by_value
    .group_segment_fixed_size: 4096
    .kernarg_segment_align: 8
    .kernarg_segment_size: 104
    .language:       OpenCL C
    .language_version:
      - 2
      - 0
    .max_flat_workgroup_size: 512
    .name:           _ZN9rocsparseL16sddmm_ell_kernelILi512ELi2EdiidddEEv20rocsparse_operation_S1_16rocsparse_order_S2_T3_S3_S3_T2_NS_24const_host_device_scalarIT1_EEPKT4_lPKT5_lS7_PT6_PKS3_21rocsparse_index_base_b
    .private_segment_fixed_size: 0
    .sgpr_count:     28
    .sgpr_spill_count: 0
    .symbol:         _ZN9rocsparseL16sddmm_ell_kernelILi512ELi2EdiidddEEv20rocsparse_operation_S1_16rocsparse_order_S2_T3_S3_S3_T2_NS_24const_host_device_scalarIT1_EEPKT4_lPKT5_lS7_PT6_PKS3_21rocsparse_index_base_b.kd
    .uniform_work_group_size: 1
    .uses_dynamic_stack: false
    .vgpr_count:     22
    .vgpr_spill_count: 0
    .wavefront_size: 64
  - .agpr_count:     0
    .args:
      - .offset:         0
        .size:           4
        .value_kind:     by_value
      - .offset:         4
        .size:           4
        .value_kind:     by_value
      - .offset:         8
        .size:           4
        .value_kind:     by_value
      - .offset:         12
        .size:           4
        .value_kind:     by_value
      - .offset:         16
        .size:           4
        .value_kind:     by_value
      - .offset:         20
        .size:           4
        .value_kind:     by_value
      - .offset:         24
        .size:           4
        .value_kind:     by_value
      - .offset:         28
        .size:           4
        .value_kind:     by_value
      - .offset:         32
        .size:           8
        .value_kind:     by_value
      - .actual_access:  read_only
        .address_space:  global
        .offset:         40
        .size:           8
        .value_kind:     global_buffer
      - .offset:         48
        .size:           8
        .value_kind:     by_value
      - .actual_access:  read_only
        .address_space:  global
        .offset:         56
        .size:           8
        .value_kind:     global_buffer
      - .offset:         64
        .size:           8
        .value_kind:     by_value
      - .offset:         72
        .size:           8
        .value_kind:     by_value
      - .address_space:  global
        .offset:         80
        .size:           8
        .value_kind:     global_buffer
      - .actual_access:  read_only
        .address_space:  global
        .offset:         88
        .size:           8
        .value_kind:     global_buffer
      - .offset:         96
        .size:           4
        .value_kind:     by_value
      - .offset:         100
        .size:           1
        .value_kind:     by_value
    .group_segment_fixed_size: 4096
    .kernarg_segment_align: 8
    .kernarg_segment_size: 104
    .language:       OpenCL C
    .language_version:
      - 2
      - 0
    .max_flat_workgroup_size: 512
    .name:           _ZN9rocsparseL16sddmm_ell_kernelILi512ELi1EdiidddEEv20rocsparse_operation_S1_16rocsparse_order_S2_T3_S3_S3_T2_NS_24const_host_device_scalarIT1_EEPKT4_lPKT5_lS7_PT6_PKS3_21rocsparse_index_base_b
    .private_segment_fixed_size: 0
    .sgpr_count:     26
    .sgpr_spill_count: 0
    .symbol:         _ZN9rocsparseL16sddmm_ell_kernelILi512ELi1EdiidddEEv20rocsparse_operation_S1_16rocsparse_order_S2_T3_S3_S3_T2_NS_24const_host_device_scalarIT1_EEPKT4_lPKT5_lS7_PT6_PKS3_21rocsparse_index_base_b.kd
    .uniform_work_group_size: 1
    .uses_dynamic_stack: false
    .vgpr_count:     20
    .vgpr_spill_count: 0
    .wavefront_size: 64
  - .agpr_count:     0
    .args:
      - .offset:         0
        .size:           4
        .value_kind:     by_value
      - .offset:         4
        .size:           4
        .value_kind:     by_value
      - .actual_access:  read_only
        .address_space:  global
        .offset:         8
        .size:           8
        .value_kind:     global_buffer
      - .offset:         16
        .size:           8
        .value_kind:     by_value
      - .offset:         24
        .size:           4
        .value_kind:     by_value
      - .actual_access:  write_only
        .address_space:  global
        .offset:         32
        .size:           8
        .value_kind:     global_buffer
      - .actual_access:  read_only
        .address_space:  global
        .offset:         40
        .size:           8
        .value_kind:     global_buffer
      - .offset:         48
        .size:           4
        .value_kind:     by_value
    .group_segment_fixed_size: 0
    .kernarg_segment_align: 8
    .kernarg_segment_size: 52
    .language:       OpenCL C
    .language_version:
      - 2
      - 0
    .max_flat_workgroup_size: 512
    .name:           _ZN9rocsparseL23sddmm_ell_sample_kernelILi16ELi32E21rocsparse_complex_numIfEiS2_EEvT2_S3_PKT3_lS3_PS4_PKS3_21rocsparse_index_base_
    .private_segment_fixed_size: 0
    .sgpr_count:     24
    .sgpr_spill_count: 0
    .symbol:         _ZN9rocsparseL23sddmm_ell_sample_kernelILi16ELi32E21rocsparse_complex_numIfEiS2_EEvT2_S3_PKT3_lS3_PS4_PKS3_21rocsparse_index_base_.kd
    .uniform_work_group_size: 1
    .uses_dynamic_stack: false
    .vgpr_count:     12
    .vgpr_spill_count: 0
    .wavefront_size: 64
  - .agpr_count:     0
    .args:
      - .offset:         0
        .size:           4
        .value_kind:     by_value
      - .offset:         4
        .size:           4
        .value_kind:     by_value
      - .actual_access:  read_only
        .address_space:  global
        .offset:         8
        .size:           8
        .value_kind:     global_buffer
      - .offset:         16
        .size:           8
        .value_kind:     by_value
      - .offset:         24
        .size:           4
        .value_kind:     by_value
      - .actual_access:  write_only
        .address_space:  global
        .offset:         32
        .size:           8
        .value_kind:     global_buffer
      - .actual_access:  read_only
        .address_space:  global
        .offset:         40
        .size:           8
        .value_kind:     global_buffer
      - .offset:         48
        .size:           4
        .value_kind:     by_value
    .group_segment_fixed_size: 0
    .kernarg_segment_align: 8
    .kernarg_segment_size: 52
    .language:       OpenCL C
    .language_version:
      - 2
      - 0
    .max_flat_workgroup_size: 1024
    .name:           _ZN9rocsparseL23sddmm_ell_sample_kernelILi16ELi64E21rocsparse_complex_numIfEiS2_EEvT2_S3_PKT3_lS3_PS4_PKS3_21rocsparse_index_base_
    .private_segment_fixed_size: 0
    .sgpr_count:     24
    .sgpr_spill_count: 0
    .symbol:         _ZN9rocsparseL23sddmm_ell_sample_kernelILi16ELi64E21rocsparse_complex_numIfEiS2_EEvT2_S3_PKT3_lS3_PS4_PKS3_21rocsparse_index_base_.kd
    .uniform_work_group_size: 1
    .uses_dynamic_stack: false
    .vgpr_count:     12
    .vgpr_spill_count: 0
    .wavefront_size: 64
  - .agpr_count:     0
    .args:
      - .offset:         0
        .size:           4
        .value_kind:     by_value
      - .offset:         4
        .size:           4
        .value_kind:     by_value
      - .offset:         8
        .size:           4
        .value_kind:     by_value
      - .offset:         12
        .size:           4
        .value_kind:     by_value
      - .offset:         16
        .size:           4
        .value_kind:     by_value
      - .offset:         20
        .size:           4
        .value_kind:     by_value
      - .offset:         24
        .size:           4
        .value_kind:     by_value
      - .offset:         28
        .size:           4
        .value_kind:     by_value
      - .offset:         32
        .size:           8
        .value_kind:     by_value
      - .actual_access:  read_only
        .address_space:  global
        .offset:         40
        .size:           8
        .value_kind:     global_buffer
      - .offset:         48
        .size:           8
        .value_kind:     by_value
      - .actual_access:  read_only
        .address_space:  global
        .offset:         56
        .size:           8
        .value_kind:     global_buffer
      - .offset:         64
        .size:           8
        .value_kind:     by_value
      - .offset:         72
        .size:           8
        .value_kind:     by_value
      - .address_space:  global
        .offset:         80
        .size:           8
        .value_kind:     global_buffer
      - .actual_access:  read_only
        .address_space:  global
        .offset:         88
        .size:           8
        .value_kind:     global_buffer
      - .offset:         96
        .size:           4
        .value_kind:     by_value
      - .offset:         100
        .size:           1
        .value_kind:     by_value
    .group_segment_fixed_size: 4096
    .kernarg_segment_align: 8
    .kernarg_segment_size: 104
    .language:       OpenCL C
    .language_version:
      - 2
      - 0
    .max_flat_workgroup_size: 512
    .name:           _ZN9rocsparseL16sddmm_ell_kernelILi512ELi8E21rocsparse_complex_numIfEiiS2_S2_S2_EEv20rocsparse_operation_S3_16rocsparse_order_S4_T3_S5_S5_T2_NS_24const_host_device_scalarIT1_EEPKT4_lPKT5_lS9_PT6_PKS5_21rocsparse_index_base_b
    .private_segment_fixed_size: 0
    .sgpr_count:     28
    .sgpr_spill_count: 0
    .symbol:         _ZN9rocsparseL16sddmm_ell_kernelILi512ELi8E21rocsparse_complex_numIfEiiS2_S2_S2_EEv20rocsparse_operation_S3_16rocsparse_order_S4_T3_S5_S5_T2_NS_24const_host_device_scalarIT1_EEPKT4_lPKT5_lS9_PT6_PKS5_21rocsparse_index_base_b.kd
    .uniform_work_group_size: 1
    .uses_dynamic_stack: false
    .vgpr_count:     24
    .vgpr_spill_count: 0
    .wavefront_size: 64
  - .agpr_count:     0
    .args:
      - .offset:         0
        .size:           4
        .value_kind:     by_value
      - .offset:         4
        .size:           4
        .value_kind:     by_value
      - .offset:         8
        .size:           4
        .value_kind:     by_value
      - .offset:         12
        .size:           4
        .value_kind:     by_value
      - .offset:         16
        .size:           4
        .value_kind:     by_value
      - .offset:         20
        .size:           4
        .value_kind:     by_value
      - .offset:         24
        .size:           4
        .value_kind:     by_value
      - .offset:         28
        .size:           4
        .value_kind:     by_value
      - .offset:         32
        .size:           8
        .value_kind:     by_value
      - .actual_access:  read_only
        .address_space:  global
        .offset:         40
        .size:           8
        .value_kind:     global_buffer
      - .offset:         48
        .size:           8
        .value_kind:     by_value
      - .actual_access:  read_only
        .address_space:  global
        .offset:         56
        .size:           8
        .value_kind:     global_buffer
      - .offset:         64
        .size:           8
        .value_kind:     by_value
      - .offset:         72
        .size:           8
        .value_kind:     by_value
      - .address_space:  global
        .offset:         80
        .size:           8
        .value_kind:     global_buffer
      - .actual_access:  read_only
        .address_space:  global
        .offset:         88
        .size:           8
        .value_kind:     global_buffer
      - .offset:         96
        .size:           4
        .value_kind:     by_value
      - .offset:         100
        .size:           1
        .value_kind:     by_value
    .group_segment_fixed_size: 4096
    .kernarg_segment_align: 8
    .kernarg_segment_size: 104
    .language:       OpenCL C
    .language_version:
      - 2
      - 0
    .max_flat_workgroup_size: 512
    .name:           _ZN9rocsparseL16sddmm_ell_kernelILi512ELi4E21rocsparse_complex_numIfEiiS2_S2_S2_EEv20rocsparse_operation_S3_16rocsparse_order_S4_T3_S5_S5_T2_NS_24const_host_device_scalarIT1_EEPKT4_lPKT5_lS9_PT6_PKS5_21rocsparse_index_base_b
    .private_segment_fixed_size: 0
    .sgpr_count:     28
    .sgpr_spill_count: 0
    .symbol:         _ZN9rocsparseL16sddmm_ell_kernelILi512ELi4E21rocsparse_complex_numIfEiiS2_S2_S2_EEv20rocsparse_operation_S3_16rocsparse_order_S4_T3_S5_S5_T2_NS_24const_host_device_scalarIT1_EEPKT4_lPKT5_lS9_PT6_PKS5_21rocsparse_index_base_b.kd
    .uniform_work_group_size: 1
    .uses_dynamic_stack: false
    .vgpr_count:     24
    .vgpr_spill_count: 0
    .wavefront_size: 64
  - .agpr_count:     0
    .args:
      - .offset:         0
        .size:           4
        .value_kind:     by_value
      - .offset:         4
        .size:           4
        .value_kind:     by_value
      - .offset:         8
        .size:           4
        .value_kind:     by_value
      - .offset:         12
        .size:           4
        .value_kind:     by_value
      - .offset:         16
        .size:           4
        .value_kind:     by_value
      - .offset:         20
        .size:           4
        .value_kind:     by_value
      - .offset:         24
        .size:           4
        .value_kind:     by_value
      - .offset:         28
        .size:           4
        .value_kind:     by_value
      - .offset:         32
        .size:           8
        .value_kind:     by_value
      - .actual_access:  read_only
        .address_space:  global
        .offset:         40
        .size:           8
        .value_kind:     global_buffer
      - .offset:         48
        .size:           8
        .value_kind:     by_value
      - .actual_access:  read_only
        .address_space:  global
        .offset:         56
        .size:           8
        .value_kind:     global_buffer
      - .offset:         64
        .size:           8
        .value_kind:     by_value
      - .offset:         72
        .size:           8
        .value_kind:     by_value
      - .address_space:  global
        .offset:         80
        .size:           8
        .value_kind:     global_buffer
      - .actual_access:  read_only
        .address_space:  global
        .offset:         88
        .size:           8
        .value_kind:     global_buffer
      - .offset:         96
        .size:           4
        .value_kind:     by_value
      - .offset:         100
        .size:           1
        .value_kind:     by_value
    .group_segment_fixed_size: 4096
    .kernarg_segment_align: 8
    .kernarg_segment_size: 104
    .language:       OpenCL C
    .language_version:
      - 2
      - 0
    .max_flat_workgroup_size: 512
    .name:           _ZN9rocsparseL16sddmm_ell_kernelILi512ELi2E21rocsparse_complex_numIfEiiS2_S2_S2_EEv20rocsparse_operation_S3_16rocsparse_order_S4_T3_S5_S5_T2_NS_24const_host_device_scalarIT1_EEPKT4_lPKT5_lS9_PT6_PKS5_21rocsparse_index_base_b
    .private_segment_fixed_size: 0
    .sgpr_count:     28
    .sgpr_spill_count: 0
    .symbol:         _ZN9rocsparseL16sddmm_ell_kernelILi512ELi2E21rocsparse_complex_numIfEiiS2_S2_S2_EEv20rocsparse_operation_S3_16rocsparse_order_S4_T3_S5_S5_T2_NS_24const_host_device_scalarIT1_EEPKT4_lPKT5_lS9_PT6_PKS5_21rocsparse_index_base_b.kd
    .uniform_work_group_size: 1
    .uses_dynamic_stack: false
    .vgpr_count:     24
    .vgpr_spill_count: 0
    .wavefront_size: 64
  - .agpr_count:     0
    .args:
      - .offset:         0
        .size:           4
        .value_kind:     by_value
      - .offset:         4
        .size:           4
        .value_kind:     by_value
      - .offset:         8
        .size:           4
        .value_kind:     by_value
      - .offset:         12
        .size:           4
        .value_kind:     by_value
      - .offset:         16
        .size:           4
        .value_kind:     by_value
      - .offset:         20
        .size:           4
        .value_kind:     by_value
      - .offset:         24
        .size:           4
        .value_kind:     by_value
      - .offset:         28
        .size:           4
        .value_kind:     by_value
      - .offset:         32
        .size:           8
        .value_kind:     by_value
      - .actual_access:  read_only
        .address_space:  global
        .offset:         40
        .size:           8
        .value_kind:     global_buffer
      - .offset:         48
        .size:           8
        .value_kind:     by_value
      - .actual_access:  read_only
        .address_space:  global
        .offset:         56
        .size:           8
        .value_kind:     global_buffer
      - .offset:         64
        .size:           8
        .value_kind:     by_value
      - .offset:         72
        .size:           8
        .value_kind:     by_value
      - .address_space:  global
        .offset:         80
        .size:           8
        .value_kind:     global_buffer
      - .actual_access:  read_only
        .address_space:  global
        .offset:         88
        .size:           8
        .value_kind:     global_buffer
      - .offset:         96
        .size:           4
        .value_kind:     by_value
      - .offset:         100
        .size:           1
        .value_kind:     by_value
    .group_segment_fixed_size: 4096
    .kernarg_segment_align: 8
    .kernarg_segment_size: 104
    .language:       OpenCL C
    .language_version:
      - 2
      - 0
    .max_flat_workgroup_size: 512
    .name:           _ZN9rocsparseL16sddmm_ell_kernelILi512ELi1E21rocsparse_complex_numIfEiiS2_S2_S2_EEv20rocsparse_operation_S3_16rocsparse_order_S4_T3_S5_S5_T2_NS_24const_host_device_scalarIT1_EEPKT4_lPKT5_lS9_PT6_PKS5_21rocsparse_index_base_b
    .private_segment_fixed_size: 0
    .sgpr_count:     26
    .sgpr_spill_count: 0
    .symbol:         _ZN9rocsparseL16sddmm_ell_kernelILi512ELi1E21rocsparse_complex_numIfEiiS2_S2_S2_EEv20rocsparse_operation_S3_16rocsparse_order_S4_T3_S5_S5_T2_NS_24const_host_device_scalarIT1_EEPKT4_lPKT5_lS9_PT6_PKS5_21rocsparse_index_base_b.kd
    .uniform_work_group_size: 1
    .uses_dynamic_stack: false
    .vgpr_count:     22
    .vgpr_spill_count: 0
    .wavefront_size: 64
  - .agpr_count:     0
    .args:
      - .offset:         0
        .size:           4
        .value_kind:     by_value
      - .offset:         4
        .size:           4
        .value_kind:     by_value
      - .actual_access:  read_only
        .address_space:  global
        .offset:         8
        .size:           8
        .value_kind:     global_buffer
      - .offset:         16
        .size:           8
        .value_kind:     by_value
      - .offset:         24
        .size:           4
        .value_kind:     by_value
      - .actual_access:  write_only
        .address_space:  global
        .offset:         32
        .size:           8
        .value_kind:     global_buffer
      - .actual_access:  read_only
        .address_space:  global
        .offset:         40
        .size:           8
        .value_kind:     global_buffer
      - .offset:         48
        .size:           4
        .value_kind:     by_value
    .group_segment_fixed_size: 0
    .kernarg_segment_align: 8
    .kernarg_segment_size: 52
    .language:       OpenCL C
    .language_version:
      - 2
      - 0
    .max_flat_workgroup_size: 512
    .name:           _ZN9rocsparseL23sddmm_ell_sample_kernelILi16ELi32E21rocsparse_complex_numIdEiS2_EEvT2_S3_PKT3_lS3_PS4_PKS3_21rocsparse_index_base_
    .private_segment_fixed_size: 0
    .sgpr_count:     24
    .sgpr_spill_count: 0
    .symbol:         _ZN9rocsparseL23sddmm_ell_sample_kernelILi16ELi32E21rocsparse_complex_numIdEiS2_EEvT2_S3_PKT3_lS3_PS4_PKS3_21rocsparse_index_base_.kd
    .uniform_work_group_size: 1
    .uses_dynamic_stack: false
    .vgpr_count:     14
    .vgpr_spill_count: 0
    .wavefront_size: 64
  - .agpr_count:     0
    .args:
      - .offset:         0
        .size:           4
        .value_kind:     by_value
      - .offset:         4
        .size:           4
        .value_kind:     by_value
      - .actual_access:  read_only
        .address_space:  global
        .offset:         8
        .size:           8
        .value_kind:     global_buffer
      - .offset:         16
        .size:           8
        .value_kind:     by_value
      - .offset:         24
        .size:           4
        .value_kind:     by_value
      - .actual_access:  write_only
        .address_space:  global
        .offset:         32
        .size:           8
        .value_kind:     global_buffer
      - .actual_access:  read_only
        .address_space:  global
        .offset:         40
        .size:           8
        .value_kind:     global_buffer
      - .offset:         48
        .size:           4
        .value_kind:     by_value
    .group_segment_fixed_size: 0
    .kernarg_segment_align: 8
    .kernarg_segment_size: 52
    .language:       OpenCL C
    .language_version:
      - 2
      - 0
    .max_flat_workgroup_size: 1024
    .name:           _ZN9rocsparseL23sddmm_ell_sample_kernelILi16ELi64E21rocsparse_complex_numIdEiS2_EEvT2_S3_PKT3_lS3_PS4_PKS3_21rocsparse_index_base_
    .private_segment_fixed_size: 0
    .sgpr_count:     24
    .sgpr_spill_count: 0
    .symbol:         _ZN9rocsparseL23sddmm_ell_sample_kernelILi16ELi64E21rocsparse_complex_numIdEiS2_EEvT2_S3_PKT3_lS3_PS4_PKS3_21rocsparse_index_base_.kd
    .uniform_work_group_size: 1
    .uses_dynamic_stack: false
    .vgpr_count:     14
    .vgpr_spill_count: 0
    .wavefront_size: 64
  - .agpr_count:     0
    .args:
      - .offset:         0
        .size:           4
        .value_kind:     by_value
      - .offset:         4
        .size:           4
        .value_kind:     by_value
      - .offset:         8
        .size:           4
        .value_kind:     by_value
      - .offset:         12
        .size:           4
        .value_kind:     by_value
      - .offset:         16
        .size:           4
        .value_kind:     by_value
      - .offset:         20
        .size:           4
        .value_kind:     by_value
      - .offset:         24
        .size:           4
        .value_kind:     by_value
      - .offset:         28
        .size:           4
        .value_kind:     by_value
      - .offset:         32
        .size:           16
        .value_kind:     by_value
      - .actual_access:  read_only
        .address_space:  global
        .offset:         48
        .size:           8
        .value_kind:     global_buffer
      - .offset:         56
        .size:           8
        .value_kind:     by_value
      - .actual_access:  read_only
        .address_space:  global
        .offset:         64
        .size:           8
        .value_kind:     global_buffer
      - .offset:         72
        .size:           8
        .value_kind:     by_value
      - .offset:         80
        .size:           16
        .value_kind:     by_value
      - .address_space:  global
        .offset:         96
        .size:           8
        .value_kind:     global_buffer
      - .actual_access:  read_only
        .address_space:  global
        .offset:         104
        .size:           8
        .value_kind:     global_buffer
      - .offset:         112
        .size:           4
        .value_kind:     by_value
      - .offset:         116
        .size:           1
        .value_kind:     by_value
    .group_segment_fixed_size: 16384
    .kernarg_segment_align: 8
    .kernarg_segment_size: 120
    .language:       OpenCL C
    .language_version:
      - 2
      - 0
    .max_flat_workgroup_size: 512
    .name:           _ZN9rocsparseL16sddmm_ell_kernelILi512ELi8E21rocsparse_complex_numIdEiiS2_S2_S2_EEv20rocsparse_operation_S3_16rocsparse_order_S4_T3_S5_S5_T2_NS_24const_host_device_scalarIT1_EEPKT4_lPKT5_lS9_PT6_PKS5_21rocsparse_index_base_b
    .private_segment_fixed_size: 0
    .sgpr_count:     28
    .sgpr_spill_count: 0
    .symbol:         _ZN9rocsparseL16sddmm_ell_kernelILi512ELi8E21rocsparse_complex_numIdEiiS2_S2_S2_EEv20rocsparse_operation_S3_16rocsparse_order_S4_T3_S5_S5_T2_NS_24const_host_device_scalarIT1_EEPKT4_lPKT5_lS9_PT6_PKS5_21rocsparse_index_base_b.kd
    .uniform_work_group_size: 1
    .uses_dynamic_stack: false
    .vgpr_count:     34
    .vgpr_spill_count: 0
    .wavefront_size: 64
  - .agpr_count:     0
    .args:
      - .offset:         0
        .size:           4
        .value_kind:     by_value
      - .offset:         4
        .size:           4
        .value_kind:     by_value
      - .offset:         8
        .size:           4
        .value_kind:     by_value
      - .offset:         12
        .size:           4
        .value_kind:     by_value
      - .offset:         16
        .size:           4
        .value_kind:     by_value
      - .offset:         20
        .size:           4
        .value_kind:     by_value
      - .offset:         24
        .size:           4
        .value_kind:     by_value
      - .offset:         28
        .size:           4
        .value_kind:     by_value
      - .offset:         32
        .size:           16
        .value_kind:     by_value
      - .actual_access:  read_only
        .address_space:  global
        .offset:         48
        .size:           8
        .value_kind:     global_buffer
      - .offset:         56
        .size:           8
        .value_kind:     by_value
      - .actual_access:  read_only
        .address_space:  global
        .offset:         64
        .size:           8
        .value_kind:     global_buffer
      - .offset:         72
        .size:           8
        .value_kind:     by_value
      - .offset:         80
        .size:           16
        .value_kind:     by_value
      - .address_space:  global
        .offset:         96
        .size:           8
        .value_kind:     global_buffer
      - .actual_access:  read_only
        .address_space:  global
        .offset:         104
        .size:           8
        .value_kind:     global_buffer
      - .offset:         112
        .size:           4
        .value_kind:     by_value
      - .offset:         116
        .size:           1
        .value_kind:     by_value
    .group_segment_fixed_size: 16384
    .kernarg_segment_align: 8
    .kernarg_segment_size: 120
    .language:       OpenCL C
    .language_version:
      - 2
      - 0
    .max_flat_workgroup_size: 512
    .name:           _ZN9rocsparseL16sddmm_ell_kernelILi512ELi4E21rocsparse_complex_numIdEiiS2_S2_S2_EEv20rocsparse_operation_S3_16rocsparse_order_S4_T3_S5_S5_T2_NS_24const_host_device_scalarIT1_EEPKT4_lPKT5_lS9_PT6_PKS5_21rocsparse_index_base_b
    .private_segment_fixed_size: 0
    .sgpr_count:     28
    .sgpr_spill_count: 0
    .symbol:         _ZN9rocsparseL16sddmm_ell_kernelILi512ELi4E21rocsparse_complex_numIdEiiS2_S2_S2_EEv20rocsparse_operation_S3_16rocsparse_order_S4_T3_S5_S5_T2_NS_24const_host_device_scalarIT1_EEPKT4_lPKT5_lS9_PT6_PKS5_21rocsparse_index_base_b.kd
    .uniform_work_group_size: 1
    .uses_dynamic_stack: false
    .vgpr_count:     34
    .vgpr_spill_count: 0
    .wavefront_size: 64
  - .agpr_count:     0
    .args:
      - .offset:         0
        .size:           4
        .value_kind:     by_value
      - .offset:         4
        .size:           4
        .value_kind:     by_value
      - .offset:         8
        .size:           4
        .value_kind:     by_value
      - .offset:         12
        .size:           4
        .value_kind:     by_value
      - .offset:         16
        .size:           4
        .value_kind:     by_value
      - .offset:         20
        .size:           4
        .value_kind:     by_value
      - .offset:         24
        .size:           4
        .value_kind:     by_value
      - .offset:         28
        .size:           4
        .value_kind:     by_value
      - .offset:         32
        .size:           16
        .value_kind:     by_value
      - .actual_access:  read_only
        .address_space:  global
        .offset:         48
        .size:           8
        .value_kind:     global_buffer
      - .offset:         56
        .size:           8
        .value_kind:     by_value
      - .actual_access:  read_only
        .address_space:  global
        .offset:         64
        .size:           8
        .value_kind:     global_buffer
      - .offset:         72
        .size:           8
        .value_kind:     by_value
      - .offset:         80
        .size:           16
        .value_kind:     by_value
      - .address_space:  global
        .offset:         96
        .size:           8
        .value_kind:     global_buffer
      - .actual_access:  read_only
        .address_space:  global
        .offset:         104
        .size:           8
        .value_kind:     global_buffer
      - .offset:         112
        .size:           4
        .value_kind:     by_value
      - .offset:         116
        .size:           1
        .value_kind:     by_value
    .group_segment_fixed_size: 16384
    .kernarg_segment_align: 8
    .kernarg_segment_size: 120
    .language:       OpenCL C
    .language_version:
      - 2
      - 0
    .max_flat_workgroup_size: 512
    .name:           _ZN9rocsparseL16sddmm_ell_kernelILi512ELi2E21rocsparse_complex_numIdEiiS2_S2_S2_EEv20rocsparse_operation_S3_16rocsparse_order_S4_T3_S5_S5_T2_NS_24const_host_device_scalarIT1_EEPKT4_lPKT5_lS9_PT6_PKS5_21rocsparse_index_base_b
    .private_segment_fixed_size: 0
    .sgpr_count:     28
    .sgpr_spill_count: 0
    .symbol:         _ZN9rocsparseL16sddmm_ell_kernelILi512ELi2E21rocsparse_complex_numIdEiiS2_S2_S2_EEv20rocsparse_operation_S3_16rocsparse_order_S4_T3_S5_S5_T2_NS_24const_host_device_scalarIT1_EEPKT4_lPKT5_lS9_PT6_PKS5_21rocsparse_index_base_b.kd
    .uniform_work_group_size: 1
    .uses_dynamic_stack: false
    .vgpr_count:     34
    .vgpr_spill_count: 0
    .wavefront_size: 64
  - .agpr_count:     0
    .args:
      - .offset:         0
        .size:           4
        .value_kind:     by_value
      - .offset:         4
        .size:           4
        .value_kind:     by_value
      - .offset:         8
        .size:           4
        .value_kind:     by_value
      - .offset:         12
        .size:           4
        .value_kind:     by_value
      - .offset:         16
        .size:           4
        .value_kind:     by_value
      - .offset:         20
        .size:           4
        .value_kind:     by_value
      - .offset:         24
        .size:           4
        .value_kind:     by_value
      - .offset:         28
        .size:           4
        .value_kind:     by_value
      - .offset:         32
        .size:           16
        .value_kind:     by_value
      - .actual_access:  read_only
        .address_space:  global
        .offset:         48
        .size:           8
        .value_kind:     global_buffer
      - .offset:         56
        .size:           8
        .value_kind:     by_value
      - .actual_access:  read_only
        .address_space:  global
        .offset:         64
        .size:           8
        .value_kind:     global_buffer
      - .offset:         72
        .size:           8
        .value_kind:     by_value
      - .offset:         80
        .size:           16
        .value_kind:     by_value
      - .address_space:  global
        .offset:         96
        .size:           8
        .value_kind:     global_buffer
      - .actual_access:  read_only
        .address_space:  global
        .offset:         104
        .size:           8
        .value_kind:     global_buffer
      - .offset:         112
        .size:           4
        .value_kind:     by_value
      - .offset:         116
        .size:           1
        .value_kind:     by_value
    .group_segment_fixed_size: 16384
    .kernarg_segment_align: 8
    .kernarg_segment_size: 120
    .language:       OpenCL C
    .language_version:
      - 2
      - 0
    .max_flat_workgroup_size: 512
    .name:           _ZN9rocsparseL16sddmm_ell_kernelILi512ELi1E21rocsparse_complex_numIdEiiS2_S2_S2_EEv20rocsparse_operation_S3_16rocsparse_order_S4_T3_S5_S5_T2_NS_24const_host_device_scalarIT1_EEPKT4_lPKT5_lS9_PT6_PKS5_21rocsparse_index_base_b
    .private_segment_fixed_size: 0
    .sgpr_count:     26
    .sgpr_spill_count: 0
    .symbol:         _ZN9rocsparseL16sddmm_ell_kernelILi512ELi1E21rocsparse_complex_numIdEiiS2_S2_S2_EEv20rocsparse_operation_S3_16rocsparse_order_S4_T3_S5_S5_T2_NS_24const_host_device_scalarIT1_EEPKT4_lPKT5_lS9_PT6_PKS5_21rocsparse_index_base_b.kd
    .uniform_work_group_size: 1
    .uses_dynamic_stack: false
    .vgpr_count:     32
    .vgpr_spill_count: 0
    .wavefront_size: 64
  - .agpr_count:     0
    .args:
      - .offset:         0
        .size:           8
        .value_kind:     by_value
      - .offset:         8
        .size:           8
        .value_kind:     by_value
      - .actual_access:  read_only
        .address_space:  global
        .offset:         16
        .size:           8
        .value_kind:     global_buffer
      - .offset:         24
        .size:           8
        .value_kind:     by_value
      - .offset:         32
        .size:           8
        .value_kind:     by_value
      - .actual_access:  write_only
        .address_space:  global
        .offset:         40
        .size:           8
        .value_kind:     global_buffer
      - .actual_access:  read_only
        .address_space:  global
        .offset:         48
        .size:           8
        .value_kind:     global_buffer
      - .offset:         56
        .size:           4
        .value_kind:     by_value
    .group_segment_fixed_size: 0
    .kernarg_segment_align: 8
    .kernarg_segment_size: 60
    .language:       OpenCL C
    .language_version:
      - 2
      - 0
    .max_flat_workgroup_size: 512
    .name:           _ZN9rocsparseL23sddmm_ell_sample_kernelILi16ELi32EDF16_lDF16_EEvT2_S1_PKT3_lS1_PS2_PKS1_21rocsparse_index_base_
    .private_segment_fixed_size: 0
    .sgpr_count:     22
    .sgpr_spill_count: 0
    .symbol:         _ZN9rocsparseL23sddmm_ell_sample_kernelILi16ELi32EDF16_lDF16_EEvT2_S1_PKT3_lS1_PS2_PKS1_21rocsparse_index_base_.kd
    .uniform_work_group_size: 1
    .uses_dynamic_stack: false
    .vgpr_count:     14
    .vgpr_spill_count: 0
    .wavefront_size: 64
  - .agpr_count:     0
    .args:
      - .offset:         0
        .size:           8
        .value_kind:     by_value
      - .offset:         8
        .size:           8
        .value_kind:     by_value
      - .actual_access:  read_only
        .address_space:  global
        .offset:         16
        .size:           8
        .value_kind:     global_buffer
      - .offset:         24
        .size:           8
        .value_kind:     by_value
      - .offset:         32
        .size:           8
        .value_kind:     by_value
      - .actual_access:  write_only
        .address_space:  global
        .offset:         40
        .size:           8
        .value_kind:     global_buffer
      - .actual_access:  read_only
        .address_space:  global
        .offset:         48
        .size:           8
        .value_kind:     global_buffer
      - .offset:         56
        .size:           4
        .value_kind:     by_value
    .group_segment_fixed_size: 0
    .kernarg_segment_align: 8
    .kernarg_segment_size: 60
    .language:       OpenCL C
    .language_version:
      - 2
      - 0
    .max_flat_workgroup_size: 1024
    .name:           _ZN9rocsparseL23sddmm_ell_sample_kernelILi16ELi64EDF16_lDF16_EEvT2_S1_PKT3_lS1_PS2_PKS1_21rocsparse_index_base_
    .private_segment_fixed_size: 0
    .sgpr_count:     22
    .sgpr_spill_count: 0
    .symbol:         _ZN9rocsparseL23sddmm_ell_sample_kernelILi16ELi64EDF16_lDF16_EEvT2_S1_PKT3_lS1_PS2_PKS1_21rocsparse_index_base_.kd
    .uniform_work_group_size: 1
    .uses_dynamic_stack: false
    .vgpr_count:     14
    .vgpr_spill_count: 0
    .wavefront_size: 64
  - .agpr_count:     0
    .args:
      - .offset:         0
        .size:           4
        .value_kind:     by_value
      - .offset:         4
        .size:           4
        .value_kind:     by_value
      - .offset:         8
        .size:           4
        .value_kind:     by_value
      - .offset:         12
        .size:           4
        .value_kind:     by_value
      - .offset:         16
        .size:           8
        .value_kind:     by_value
      - .offset:         24
        .size:           8
        .value_kind:     by_value
      - .offset:         32
        .size:           8
        .value_kind:     by_value
      - .offset:         40
        .size:           8
        .value_kind:     by_value
      - .offset:         48
        .size:           8
        .value_kind:     by_value
      - .actual_access:  read_only
        .address_space:  global
        .offset:         56
        .size:           8
        .value_kind:     global_buffer
      - .offset:         64
        .size:           8
        .value_kind:     by_value
      - .actual_access:  read_only
        .address_space:  global
        .offset:         72
        .size:           8
        .value_kind:     global_buffer
      - .offset:         80
        .size:           8
        .value_kind:     by_value
      - .offset:         88
        .size:           8
        .value_kind:     by_value
      - .address_space:  global
        .offset:         96
        .size:           8
        .value_kind:     global_buffer
      - .actual_access:  read_only
        .address_space:  global
        .offset:         104
        .size:           8
        .value_kind:     global_buffer
      - .offset:         112
        .size:           4
        .value_kind:     by_value
      - .offset:         116
        .size:           1
        .value_kind:     by_value
    .group_segment_fixed_size: 1024
    .kernarg_segment_align: 8
    .kernarg_segment_size: 120
    .language:       OpenCL C
    .language_version:
      - 2
      - 0
    .max_flat_workgroup_size: 512
    .name:           _ZN9rocsparseL16sddmm_ell_kernelILi512ELi8EDF16_llDF16_DF16_DF16_EEv20rocsparse_operation_S1_16rocsparse_order_S2_T3_S3_S3_T2_NS_24const_host_device_scalarIT1_EEPKT4_lPKT5_lS7_PT6_PKS3_21rocsparse_index_base_b
    .private_segment_fixed_size: 0
    .sgpr_count:     28
    .sgpr_spill_count: 0
    .symbol:         _ZN9rocsparseL16sddmm_ell_kernelILi512ELi8EDF16_llDF16_DF16_DF16_EEv20rocsparse_operation_S1_16rocsparse_order_S2_T3_S3_S3_T2_NS_24const_host_device_scalarIT1_EEPKT4_lPKT5_lS7_PT6_PKS3_21rocsparse_index_base_b.kd
    .uniform_work_group_size: 1
    .uses_dynamic_stack: false
    .vgpr_count:     17
    .vgpr_spill_count: 0
    .wavefront_size: 64
  - .agpr_count:     0
    .args:
      - .offset:         0
        .size:           4
        .value_kind:     by_value
      - .offset:         4
        .size:           4
        .value_kind:     by_value
      - .offset:         8
        .size:           4
        .value_kind:     by_value
      - .offset:         12
        .size:           4
        .value_kind:     by_value
      - .offset:         16
        .size:           8
        .value_kind:     by_value
      - .offset:         24
        .size:           8
        .value_kind:     by_value
      - .offset:         32
        .size:           8
        .value_kind:     by_value
      - .offset:         40
        .size:           8
        .value_kind:     by_value
      - .offset:         48
        .size:           8
        .value_kind:     by_value
      - .actual_access:  read_only
        .address_space:  global
        .offset:         56
        .size:           8
        .value_kind:     global_buffer
      - .offset:         64
        .size:           8
        .value_kind:     by_value
      - .actual_access:  read_only
        .address_space:  global
        .offset:         72
        .size:           8
        .value_kind:     global_buffer
      - .offset:         80
        .size:           8
        .value_kind:     by_value
      - .offset:         88
        .size:           8
        .value_kind:     by_value
      - .address_space:  global
        .offset:         96
        .size:           8
        .value_kind:     global_buffer
      - .actual_access:  read_only
        .address_space:  global
        .offset:         104
        .size:           8
        .value_kind:     global_buffer
      - .offset:         112
        .size:           4
        .value_kind:     by_value
      - .offset:         116
        .size:           1
        .value_kind:     by_value
    .group_segment_fixed_size: 1024
    .kernarg_segment_align: 8
    .kernarg_segment_size: 120
    .language:       OpenCL C
    .language_version:
      - 2
      - 0
    .max_flat_workgroup_size: 512
    .name:           _ZN9rocsparseL16sddmm_ell_kernelILi512ELi4EDF16_llDF16_DF16_DF16_EEv20rocsparse_operation_S1_16rocsparse_order_S2_T3_S3_S3_T2_NS_24const_host_device_scalarIT1_EEPKT4_lPKT5_lS7_PT6_PKS3_21rocsparse_index_base_b
    .private_segment_fixed_size: 0
    .sgpr_count:     28
    .sgpr_spill_count: 0
    .symbol:         _ZN9rocsparseL16sddmm_ell_kernelILi512ELi4EDF16_llDF16_DF16_DF16_EEv20rocsparse_operation_S1_16rocsparse_order_S2_T3_S3_S3_T2_NS_24const_host_device_scalarIT1_EEPKT4_lPKT5_lS7_PT6_PKS3_21rocsparse_index_base_b.kd
    .uniform_work_group_size: 1
    .uses_dynamic_stack: false
    .vgpr_count:     17
    .vgpr_spill_count: 0
    .wavefront_size: 64
  - .agpr_count:     0
    .args:
      - .offset:         0
        .size:           4
        .value_kind:     by_value
      - .offset:         4
        .size:           4
        .value_kind:     by_value
      - .offset:         8
        .size:           4
        .value_kind:     by_value
      - .offset:         12
        .size:           4
        .value_kind:     by_value
      - .offset:         16
        .size:           8
        .value_kind:     by_value
      - .offset:         24
        .size:           8
        .value_kind:     by_value
      - .offset:         32
        .size:           8
        .value_kind:     by_value
      - .offset:         40
        .size:           8
        .value_kind:     by_value
      - .offset:         48
        .size:           8
        .value_kind:     by_value
      - .actual_access:  read_only
        .address_space:  global
        .offset:         56
        .size:           8
        .value_kind:     global_buffer
      - .offset:         64
        .size:           8
        .value_kind:     by_value
      - .actual_access:  read_only
        .address_space:  global
        .offset:         72
        .size:           8
        .value_kind:     global_buffer
      - .offset:         80
        .size:           8
        .value_kind:     by_value
      - .offset:         88
        .size:           8
        .value_kind:     by_value
      - .address_space:  global
        .offset:         96
        .size:           8
        .value_kind:     global_buffer
      - .actual_access:  read_only
        .address_space:  global
        .offset:         104
        .size:           8
        .value_kind:     global_buffer
      - .offset:         112
        .size:           4
        .value_kind:     by_value
      - .offset:         116
        .size:           1
        .value_kind:     by_value
    .group_segment_fixed_size: 1024
    .kernarg_segment_align: 8
    .kernarg_segment_size: 120
    .language:       OpenCL C
    .language_version:
      - 2
      - 0
    .max_flat_workgroup_size: 512
    .name:           _ZN9rocsparseL16sddmm_ell_kernelILi512ELi2EDF16_llDF16_DF16_DF16_EEv20rocsparse_operation_S1_16rocsparse_order_S2_T3_S3_S3_T2_NS_24const_host_device_scalarIT1_EEPKT4_lPKT5_lS7_PT6_PKS3_21rocsparse_index_base_b
    .private_segment_fixed_size: 0
    .sgpr_count:     28
    .sgpr_spill_count: 0
    .symbol:         _ZN9rocsparseL16sddmm_ell_kernelILi512ELi2EDF16_llDF16_DF16_DF16_EEv20rocsparse_operation_S1_16rocsparse_order_S2_T3_S3_S3_T2_NS_24const_host_device_scalarIT1_EEPKT4_lPKT5_lS7_PT6_PKS3_21rocsparse_index_base_b.kd
    .uniform_work_group_size: 1
    .uses_dynamic_stack: false
    .vgpr_count:     17
    .vgpr_spill_count: 0
    .wavefront_size: 64
  - .agpr_count:     0
    .args:
      - .offset:         0
        .size:           4
        .value_kind:     by_value
      - .offset:         4
        .size:           4
        .value_kind:     by_value
      - .offset:         8
        .size:           4
        .value_kind:     by_value
      - .offset:         12
        .size:           4
        .value_kind:     by_value
      - .offset:         16
        .size:           8
        .value_kind:     by_value
      - .offset:         24
        .size:           8
        .value_kind:     by_value
      - .offset:         32
        .size:           8
        .value_kind:     by_value
      - .offset:         40
        .size:           8
        .value_kind:     by_value
      - .offset:         48
        .size:           8
        .value_kind:     by_value
      - .actual_access:  read_only
        .address_space:  global
        .offset:         56
        .size:           8
        .value_kind:     global_buffer
      - .offset:         64
        .size:           8
        .value_kind:     by_value
      - .actual_access:  read_only
        .address_space:  global
        .offset:         72
        .size:           8
        .value_kind:     global_buffer
      - .offset:         80
        .size:           8
        .value_kind:     by_value
      - .offset:         88
        .size:           8
        .value_kind:     by_value
      - .address_space:  global
        .offset:         96
        .size:           8
        .value_kind:     global_buffer
      - .actual_access:  read_only
        .address_space:  global
        .offset:         104
        .size:           8
        .value_kind:     global_buffer
      - .offset:         112
        .size:           4
        .value_kind:     by_value
      - .offset:         116
        .size:           1
        .value_kind:     by_value
    .group_segment_fixed_size: 1024
    .kernarg_segment_align: 8
    .kernarg_segment_size: 120
    .language:       OpenCL C
    .language_version:
      - 2
      - 0
    .max_flat_workgroup_size: 512
    .name:           _ZN9rocsparseL16sddmm_ell_kernelILi512ELi1EDF16_llDF16_DF16_DF16_EEv20rocsparse_operation_S1_16rocsparse_order_S2_T3_S3_S3_T2_NS_24const_host_device_scalarIT1_EEPKT4_lPKT5_lS7_PT6_PKS3_21rocsparse_index_base_b
    .private_segment_fixed_size: 0
    .sgpr_count:     26
    .sgpr_spill_count: 0
    .symbol:         _ZN9rocsparseL16sddmm_ell_kernelILi512ELi1EDF16_llDF16_DF16_DF16_EEv20rocsparse_operation_S1_16rocsparse_order_S2_T3_S3_S3_T2_NS_24const_host_device_scalarIT1_EEPKT4_lPKT5_lS7_PT6_PKS3_21rocsparse_index_base_b.kd
    .uniform_work_group_size: 1
    .uses_dynamic_stack: false
    .vgpr_count:     14
    .vgpr_spill_count: 0
    .wavefront_size: 64
  - .agpr_count:     0
    .args:
      - .offset:         0
        .size:           8
        .value_kind:     by_value
      - .offset:         8
        .size:           8
        .value_kind:     by_value
      - .actual_access:  read_only
        .address_space:  global
        .offset:         16
        .size:           8
        .value_kind:     global_buffer
      - .offset:         24
        .size:           8
        .value_kind:     by_value
      - .offset:         32
        .size:           8
        .value_kind:     by_value
      - .actual_access:  write_only
        .address_space:  global
        .offset:         40
        .size:           8
        .value_kind:     global_buffer
      - .actual_access:  read_only
        .address_space:  global
        .offset:         48
        .size:           8
        .value_kind:     global_buffer
      - .offset:         56
        .size:           4
        .value_kind:     by_value
    .group_segment_fixed_size: 0
    .kernarg_segment_align: 8
    .kernarg_segment_size: 60
    .language:       OpenCL C
    .language_version:
      - 2
      - 0
    .max_flat_workgroup_size: 512
    .name:           _ZN9rocsparseL23sddmm_ell_sample_kernelILi16ELi32EflfEEvT2_S1_PKT3_lS1_PS2_PKS1_21rocsparse_index_base_
    .private_segment_fixed_size: 0
    .sgpr_count:     22
    .sgpr_spill_count: 0
    .symbol:         _ZN9rocsparseL23sddmm_ell_sample_kernelILi16ELi32EflfEEvT2_S1_PKT3_lS1_PS2_PKS1_21rocsparse_index_base_.kd
    .uniform_work_group_size: 1
    .uses_dynamic_stack: false
    .vgpr_count:     14
    .vgpr_spill_count: 0
    .wavefront_size: 64
  - .agpr_count:     0
    .args:
      - .offset:         0
        .size:           8
        .value_kind:     by_value
      - .offset:         8
        .size:           8
        .value_kind:     by_value
      - .actual_access:  read_only
        .address_space:  global
        .offset:         16
        .size:           8
        .value_kind:     global_buffer
      - .offset:         24
        .size:           8
        .value_kind:     by_value
      - .offset:         32
        .size:           8
        .value_kind:     by_value
      - .actual_access:  write_only
        .address_space:  global
        .offset:         40
        .size:           8
        .value_kind:     global_buffer
      - .actual_access:  read_only
        .address_space:  global
        .offset:         48
        .size:           8
        .value_kind:     global_buffer
      - .offset:         56
        .size:           4
        .value_kind:     by_value
    .group_segment_fixed_size: 0
    .kernarg_segment_align: 8
    .kernarg_segment_size: 60
    .language:       OpenCL C
    .language_version:
      - 2
      - 0
    .max_flat_workgroup_size: 1024
    .name:           _ZN9rocsparseL23sddmm_ell_sample_kernelILi16ELi64EflfEEvT2_S1_PKT3_lS1_PS2_PKS1_21rocsparse_index_base_
    .private_segment_fixed_size: 0
    .sgpr_count:     22
    .sgpr_spill_count: 0
    .symbol:         _ZN9rocsparseL23sddmm_ell_sample_kernelILi16ELi64EflfEEvT2_S1_PKT3_lS1_PS2_PKS1_21rocsparse_index_base_.kd
    .uniform_work_group_size: 1
    .uses_dynamic_stack: false
    .vgpr_count:     14
    .vgpr_spill_count: 0
    .wavefront_size: 64
  - .agpr_count:     0
    .args:
      - .offset:         0
        .size:           4
        .value_kind:     by_value
      - .offset:         4
        .size:           4
        .value_kind:     by_value
      - .offset:         8
        .size:           4
        .value_kind:     by_value
      - .offset:         12
        .size:           4
        .value_kind:     by_value
      - .offset:         16
        .size:           8
        .value_kind:     by_value
      - .offset:         24
        .size:           8
        .value_kind:     by_value
      - .offset:         32
        .size:           8
        .value_kind:     by_value
      - .offset:         40
        .size:           8
        .value_kind:     by_value
      - .offset:         48
        .size:           8
        .value_kind:     by_value
      - .actual_access:  read_only
        .address_space:  global
        .offset:         56
        .size:           8
        .value_kind:     global_buffer
      - .offset:         64
        .size:           8
        .value_kind:     by_value
      - .actual_access:  read_only
        .address_space:  global
        .offset:         72
        .size:           8
        .value_kind:     global_buffer
      - .offset:         80
        .size:           8
        .value_kind:     by_value
      - .offset:         88
        .size:           8
        .value_kind:     by_value
      - .address_space:  global
        .offset:         96
        .size:           8
        .value_kind:     global_buffer
      - .actual_access:  read_only
        .address_space:  global
        .offset:         104
        .size:           8
        .value_kind:     global_buffer
      - .offset:         112
        .size:           4
        .value_kind:     by_value
      - .offset:         116
        .size:           1
        .value_kind:     by_value
    .group_segment_fixed_size: 2048
    .kernarg_segment_align: 8
    .kernarg_segment_size: 120
    .language:       OpenCL C
    .language_version:
      - 2
      - 0
    .max_flat_workgroup_size: 512
    .name:           _ZN9rocsparseL16sddmm_ell_kernelILi512ELi8EfllfffEEv20rocsparse_operation_S1_16rocsparse_order_S2_T3_S3_S3_T2_NS_24const_host_device_scalarIT1_EEPKT4_lPKT5_lS7_PT6_PKS3_21rocsparse_index_base_b
    .private_segment_fixed_size: 0
    .sgpr_count:     32
    .sgpr_spill_count: 0
    .symbol:         _ZN9rocsparseL16sddmm_ell_kernelILi512ELi8EfllfffEEv20rocsparse_operation_S1_16rocsparse_order_S2_T3_S3_S3_T2_NS_24const_host_device_scalarIT1_EEPKT4_lPKT5_lS7_PT6_PKS3_21rocsparse_index_base_b.kd
    .uniform_work_group_size: 1
    .uses_dynamic_stack: false
    .vgpr_count:     15
    .vgpr_spill_count: 0
    .wavefront_size: 64
  - .agpr_count:     0
    .args:
      - .offset:         0
        .size:           4
        .value_kind:     by_value
      - .offset:         4
        .size:           4
        .value_kind:     by_value
      - .offset:         8
        .size:           4
        .value_kind:     by_value
      - .offset:         12
        .size:           4
        .value_kind:     by_value
      - .offset:         16
        .size:           8
        .value_kind:     by_value
      - .offset:         24
        .size:           8
        .value_kind:     by_value
      - .offset:         32
        .size:           8
        .value_kind:     by_value
      - .offset:         40
        .size:           8
        .value_kind:     by_value
      - .offset:         48
        .size:           8
        .value_kind:     by_value
      - .actual_access:  read_only
        .address_space:  global
        .offset:         56
        .size:           8
        .value_kind:     global_buffer
      - .offset:         64
        .size:           8
        .value_kind:     by_value
      - .actual_access:  read_only
        .address_space:  global
        .offset:         72
        .size:           8
        .value_kind:     global_buffer
      - .offset:         80
        .size:           8
        .value_kind:     by_value
      - .offset:         88
        .size:           8
        .value_kind:     by_value
      - .address_space:  global
        .offset:         96
        .size:           8
        .value_kind:     global_buffer
      - .actual_access:  read_only
        .address_space:  global
        .offset:         104
        .size:           8
        .value_kind:     global_buffer
      - .offset:         112
        .size:           4
        .value_kind:     by_value
      - .offset:         116
        .size:           1
        .value_kind:     by_value
    .group_segment_fixed_size: 2048
    .kernarg_segment_align: 8
    .kernarg_segment_size: 120
    .language:       OpenCL C
    .language_version:
      - 2
      - 0
    .max_flat_workgroup_size: 512
    .name:           _ZN9rocsparseL16sddmm_ell_kernelILi512ELi4EfllfffEEv20rocsparse_operation_S1_16rocsparse_order_S2_T3_S3_S3_T2_NS_24const_host_device_scalarIT1_EEPKT4_lPKT5_lS7_PT6_PKS3_21rocsparse_index_base_b
    .private_segment_fixed_size: 0
    .sgpr_count:     32
    .sgpr_spill_count: 0
    .symbol:         _ZN9rocsparseL16sddmm_ell_kernelILi512ELi4EfllfffEEv20rocsparse_operation_S1_16rocsparse_order_S2_T3_S3_S3_T2_NS_24const_host_device_scalarIT1_EEPKT4_lPKT5_lS7_PT6_PKS3_21rocsparse_index_base_b.kd
    .uniform_work_group_size: 1
    .uses_dynamic_stack: false
    .vgpr_count:     15
    .vgpr_spill_count: 0
    .wavefront_size: 64
  - .agpr_count:     0
    .args:
      - .offset:         0
        .size:           4
        .value_kind:     by_value
      - .offset:         4
        .size:           4
        .value_kind:     by_value
      - .offset:         8
        .size:           4
        .value_kind:     by_value
      - .offset:         12
        .size:           4
        .value_kind:     by_value
      - .offset:         16
        .size:           8
        .value_kind:     by_value
      - .offset:         24
        .size:           8
        .value_kind:     by_value
      - .offset:         32
        .size:           8
        .value_kind:     by_value
      - .offset:         40
        .size:           8
        .value_kind:     by_value
      - .offset:         48
        .size:           8
        .value_kind:     by_value
      - .actual_access:  read_only
        .address_space:  global
        .offset:         56
        .size:           8
        .value_kind:     global_buffer
      - .offset:         64
        .size:           8
        .value_kind:     by_value
      - .actual_access:  read_only
        .address_space:  global
        .offset:         72
        .size:           8
        .value_kind:     global_buffer
      - .offset:         80
        .size:           8
        .value_kind:     by_value
      - .offset:         88
        .size:           8
        .value_kind:     by_value
      - .address_space:  global
        .offset:         96
        .size:           8
        .value_kind:     global_buffer
      - .actual_access:  read_only
        .address_space:  global
        .offset:         104
        .size:           8
        .value_kind:     global_buffer
      - .offset:         112
        .size:           4
        .value_kind:     by_value
      - .offset:         116
        .size:           1
        .value_kind:     by_value
    .group_segment_fixed_size: 2048
    .kernarg_segment_align: 8
    .kernarg_segment_size: 120
    .language:       OpenCL C
    .language_version:
      - 2
      - 0
    .max_flat_workgroup_size: 512
    .name:           _ZN9rocsparseL16sddmm_ell_kernelILi512ELi2EfllfffEEv20rocsparse_operation_S1_16rocsparse_order_S2_T3_S3_S3_T2_NS_24const_host_device_scalarIT1_EEPKT4_lPKT5_lS7_PT6_PKS3_21rocsparse_index_base_b
    .private_segment_fixed_size: 0
    .sgpr_count:     32
    .sgpr_spill_count: 0
    .symbol:         _ZN9rocsparseL16sddmm_ell_kernelILi512ELi2EfllfffEEv20rocsparse_operation_S1_16rocsparse_order_S2_T3_S3_S3_T2_NS_24const_host_device_scalarIT1_EEPKT4_lPKT5_lS7_PT6_PKS3_21rocsparse_index_base_b.kd
    .uniform_work_group_size: 1
    .uses_dynamic_stack: false
    .vgpr_count:     15
    .vgpr_spill_count: 0
    .wavefront_size: 64
  - .agpr_count:     0
    .args:
      - .offset:         0
        .size:           4
        .value_kind:     by_value
      - .offset:         4
        .size:           4
        .value_kind:     by_value
      - .offset:         8
        .size:           4
        .value_kind:     by_value
      - .offset:         12
        .size:           4
        .value_kind:     by_value
      - .offset:         16
        .size:           8
        .value_kind:     by_value
      - .offset:         24
        .size:           8
        .value_kind:     by_value
      - .offset:         32
        .size:           8
        .value_kind:     by_value
      - .offset:         40
        .size:           8
        .value_kind:     by_value
      - .offset:         48
        .size:           8
        .value_kind:     by_value
      - .actual_access:  read_only
        .address_space:  global
        .offset:         56
        .size:           8
        .value_kind:     global_buffer
      - .offset:         64
        .size:           8
        .value_kind:     by_value
      - .actual_access:  read_only
        .address_space:  global
        .offset:         72
        .size:           8
        .value_kind:     global_buffer
      - .offset:         80
        .size:           8
        .value_kind:     by_value
      - .offset:         88
        .size:           8
        .value_kind:     by_value
      - .address_space:  global
        .offset:         96
        .size:           8
        .value_kind:     global_buffer
      - .actual_access:  read_only
        .address_space:  global
        .offset:         104
        .size:           8
        .value_kind:     global_buffer
      - .offset:         112
        .size:           4
        .value_kind:     by_value
      - .offset:         116
        .size:           1
        .value_kind:     by_value
    .group_segment_fixed_size: 2048
    .kernarg_segment_align: 8
    .kernarg_segment_size: 120
    .language:       OpenCL C
    .language_version:
      - 2
      - 0
    .max_flat_workgroup_size: 512
    .name:           _ZN9rocsparseL16sddmm_ell_kernelILi512ELi1EfllfffEEv20rocsparse_operation_S1_16rocsparse_order_S2_T3_S3_S3_T2_NS_24const_host_device_scalarIT1_EEPKT4_lPKT5_lS7_PT6_PKS3_21rocsparse_index_base_b
    .private_segment_fixed_size: 0
    .sgpr_count:     30
    .sgpr_spill_count: 0
    .symbol:         _ZN9rocsparseL16sddmm_ell_kernelILi512ELi1EfllfffEEv20rocsparse_operation_S1_16rocsparse_order_S2_T3_S3_S3_T2_NS_24const_host_device_scalarIT1_EEPKT4_lPKT5_lS7_PT6_PKS3_21rocsparse_index_base_b.kd
    .uniform_work_group_size: 1
    .uses_dynamic_stack: false
    .vgpr_count:     12
    .vgpr_spill_count: 0
    .wavefront_size: 64
  - .agpr_count:     0
    .args:
      - .offset:         0
        .size:           8
        .value_kind:     by_value
      - .offset:         8
        .size:           8
        .value_kind:     by_value
      - .actual_access:  read_only
        .address_space:  global
        .offset:         16
        .size:           8
        .value_kind:     global_buffer
      - .offset:         24
        .size:           8
        .value_kind:     by_value
      - .offset:         32
        .size:           8
        .value_kind:     by_value
      - .actual_access:  write_only
        .address_space:  global
        .offset:         40
        .size:           8
        .value_kind:     global_buffer
      - .actual_access:  read_only
        .address_space:  global
        .offset:         48
        .size:           8
        .value_kind:     global_buffer
      - .offset:         56
        .size:           4
        .value_kind:     by_value
    .group_segment_fixed_size: 0
    .kernarg_segment_align: 8
    .kernarg_segment_size: 60
    .language:       OpenCL C
    .language_version:
      - 2
      - 0
    .max_flat_workgroup_size: 512
    .name:           _ZN9rocsparseL23sddmm_ell_sample_kernelILi16ELi32EdldEEvT2_S1_PKT3_lS1_PS2_PKS1_21rocsparse_index_base_
    .private_segment_fixed_size: 0
    .sgpr_count:     22
    .sgpr_spill_count: 0
    .symbol:         _ZN9rocsparseL23sddmm_ell_sample_kernelILi16ELi32EdldEEvT2_S1_PKT3_lS1_PS2_PKS1_21rocsparse_index_base_.kd
    .uniform_work_group_size: 1
    .uses_dynamic_stack: false
    .vgpr_count:     14
    .vgpr_spill_count: 0
    .wavefront_size: 64
  - .agpr_count:     0
    .args:
      - .offset:         0
        .size:           8
        .value_kind:     by_value
      - .offset:         8
        .size:           8
        .value_kind:     by_value
      - .actual_access:  read_only
        .address_space:  global
        .offset:         16
        .size:           8
        .value_kind:     global_buffer
      - .offset:         24
        .size:           8
        .value_kind:     by_value
      - .offset:         32
        .size:           8
        .value_kind:     by_value
      - .actual_access:  write_only
        .address_space:  global
        .offset:         40
        .size:           8
        .value_kind:     global_buffer
      - .actual_access:  read_only
        .address_space:  global
        .offset:         48
        .size:           8
        .value_kind:     global_buffer
      - .offset:         56
        .size:           4
        .value_kind:     by_value
    .group_segment_fixed_size: 0
    .kernarg_segment_align: 8
    .kernarg_segment_size: 60
    .language:       OpenCL C
    .language_version:
      - 2
      - 0
    .max_flat_workgroup_size: 1024
    .name:           _ZN9rocsparseL23sddmm_ell_sample_kernelILi16ELi64EdldEEvT2_S1_PKT3_lS1_PS2_PKS1_21rocsparse_index_base_
    .private_segment_fixed_size: 0
    .sgpr_count:     22
    .sgpr_spill_count: 0
    .symbol:         _ZN9rocsparseL23sddmm_ell_sample_kernelILi16ELi64EdldEEvT2_S1_PKT3_lS1_PS2_PKS1_21rocsparse_index_base_.kd
    .uniform_work_group_size: 1
    .uses_dynamic_stack: false
    .vgpr_count:     14
    .vgpr_spill_count: 0
    .wavefront_size: 64
  - .agpr_count:     0
    .args:
      - .offset:         0
        .size:           4
        .value_kind:     by_value
      - .offset:         4
        .size:           4
        .value_kind:     by_value
      - .offset:         8
        .size:           4
        .value_kind:     by_value
      - .offset:         12
        .size:           4
        .value_kind:     by_value
      - .offset:         16
        .size:           8
        .value_kind:     by_value
      - .offset:         24
        .size:           8
        .value_kind:     by_value
      - .offset:         32
        .size:           8
        .value_kind:     by_value
      - .offset:         40
        .size:           8
        .value_kind:     by_value
      - .offset:         48
        .size:           8
        .value_kind:     by_value
      - .actual_access:  read_only
        .address_space:  global
        .offset:         56
        .size:           8
        .value_kind:     global_buffer
      - .offset:         64
        .size:           8
        .value_kind:     by_value
      - .actual_access:  read_only
        .address_space:  global
        .offset:         72
        .size:           8
        .value_kind:     global_buffer
      - .offset:         80
        .size:           8
        .value_kind:     by_value
      - .offset:         88
        .size:           8
        .value_kind:     by_value
      - .address_space:  global
        .offset:         96
        .size:           8
        .value_kind:     global_buffer
      - .actual_access:  read_only
        .address_space:  global
        .offset:         104
        .size:           8
        .value_kind:     global_buffer
      - .offset:         112
        .size:           4
        .value_kind:     by_value
      - .offset:         116
        .size:           1
        .value_kind:     by_value
    .group_segment_fixed_size: 4096
    .kernarg_segment_align: 8
    .kernarg_segment_size: 120
    .language:       OpenCL C
    .language_version:
      - 2
      - 0
    .max_flat_workgroup_size: 512
    .name:           _ZN9rocsparseL16sddmm_ell_kernelILi512ELi8EdlldddEEv20rocsparse_operation_S1_16rocsparse_order_S2_T3_S3_S3_T2_NS_24const_host_device_scalarIT1_EEPKT4_lPKT5_lS7_PT6_PKS3_21rocsparse_index_base_b
    .private_segment_fixed_size: 0
    .sgpr_count:     28
    .sgpr_spill_count: 0
    .symbol:         _ZN9rocsparseL16sddmm_ell_kernelILi512ELi8EdlldddEEv20rocsparse_operation_S1_16rocsparse_order_S2_T3_S3_S3_T2_NS_24const_host_device_scalarIT1_EEPKT4_lPKT5_lS7_PT6_PKS3_21rocsparse_index_base_b.kd
    .uniform_work_group_size: 1
    .uses_dynamic_stack: false
    .vgpr_count:     24
    .vgpr_spill_count: 0
    .wavefront_size: 64
  - .agpr_count:     0
    .args:
      - .offset:         0
        .size:           4
        .value_kind:     by_value
      - .offset:         4
        .size:           4
        .value_kind:     by_value
      - .offset:         8
        .size:           4
        .value_kind:     by_value
      - .offset:         12
        .size:           4
        .value_kind:     by_value
      - .offset:         16
        .size:           8
        .value_kind:     by_value
      - .offset:         24
        .size:           8
        .value_kind:     by_value
      - .offset:         32
        .size:           8
        .value_kind:     by_value
      - .offset:         40
        .size:           8
        .value_kind:     by_value
      - .offset:         48
        .size:           8
        .value_kind:     by_value
      - .actual_access:  read_only
        .address_space:  global
        .offset:         56
        .size:           8
        .value_kind:     global_buffer
      - .offset:         64
        .size:           8
        .value_kind:     by_value
      - .actual_access:  read_only
        .address_space:  global
        .offset:         72
        .size:           8
        .value_kind:     global_buffer
      - .offset:         80
        .size:           8
        .value_kind:     by_value
      - .offset:         88
        .size:           8
        .value_kind:     by_value
      - .address_space:  global
        .offset:         96
        .size:           8
        .value_kind:     global_buffer
      - .actual_access:  read_only
        .address_space:  global
        .offset:         104
        .size:           8
        .value_kind:     global_buffer
      - .offset:         112
        .size:           4
        .value_kind:     by_value
      - .offset:         116
        .size:           1
        .value_kind:     by_value
    .group_segment_fixed_size: 4096
    .kernarg_segment_align: 8
    .kernarg_segment_size: 120
    .language:       OpenCL C
    .language_version:
      - 2
      - 0
    .max_flat_workgroup_size: 512
    .name:           _ZN9rocsparseL16sddmm_ell_kernelILi512ELi4EdlldddEEv20rocsparse_operation_S1_16rocsparse_order_S2_T3_S3_S3_T2_NS_24const_host_device_scalarIT1_EEPKT4_lPKT5_lS7_PT6_PKS3_21rocsparse_index_base_b
    .private_segment_fixed_size: 0
    .sgpr_count:     28
    .sgpr_spill_count: 0
    .symbol:         _ZN9rocsparseL16sddmm_ell_kernelILi512ELi4EdlldddEEv20rocsparse_operation_S1_16rocsparse_order_S2_T3_S3_S3_T2_NS_24const_host_device_scalarIT1_EEPKT4_lPKT5_lS7_PT6_PKS3_21rocsparse_index_base_b.kd
    .uniform_work_group_size: 1
    .uses_dynamic_stack: false
    .vgpr_count:     24
    .vgpr_spill_count: 0
    .wavefront_size: 64
  - .agpr_count:     0
    .args:
      - .offset:         0
        .size:           4
        .value_kind:     by_value
      - .offset:         4
        .size:           4
        .value_kind:     by_value
      - .offset:         8
        .size:           4
        .value_kind:     by_value
      - .offset:         12
        .size:           4
        .value_kind:     by_value
      - .offset:         16
        .size:           8
        .value_kind:     by_value
      - .offset:         24
        .size:           8
        .value_kind:     by_value
      - .offset:         32
        .size:           8
        .value_kind:     by_value
      - .offset:         40
        .size:           8
        .value_kind:     by_value
      - .offset:         48
        .size:           8
        .value_kind:     by_value
      - .actual_access:  read_only
        .address_space:  global
        .offset:         56
        .size:           8
        .value_kind:     global_buffer
      - .offset:         64
        .size:           8
        .value_kind:     by_value
      - .actual_access:  read_only
        .address_space:  global
        .offset:         72
        .size:           8
        .value_kind:     global_buffer
      - .offset:         80
        .size:           8
        .value_kind:     by_value
      - .offset:         88
        .size:           8
        .value_kind:     by_value
      - .address_space:  global
        .offset:         96
        .size:           8
        .value_kind:     global_buffer
      - .actual_access:  read_only
        .address_space:  global
        .offset:         104
        .size:           8
        .value_kind:     global_buffer
      - .offset:         112
        .size:           4
        .value_kind:     by_value
      - .offset:         116
        .size:           1
        .value_kind:     by_value
    .group_segment_fixed_size: 4096
    .kernarg_segment_align: 8
    .kernarg_segment_size: 120
    .language:       OpenCL C
    .language_version:
      - 2
      - 0
    .max_flat_workgroup_size: 512
    .name:           _ZN9rocsparseL16sddmm_ell_kernelILi512ELi2EdlldddEEv20rocsparse_operation_S1_16rocsparse_order_S2_T3_S3_S3_T2_NS_24const_host_device_scalarIT1_EEPKT4_lPKT5_lS7_PT6_PKS3_21rocsparse_index_base_b
    .private_segment_fixed_size: 0
    .sgpr_count:     28
    .sgpr_spill_count: 0
    .symbol:         _ZN9rocsparseL16sddmm_ell_kernelILi512ELi2EdlldddEEv20rocsparse_operation_S1_16rocsparse_order_S2_T3_S3_S3_T2_NS_24const_host_device_scalarIT1_EEPKT4_lPKT5_lS7_PT6_PKS3_21rocsparse_index_base_b.kd
    .uniform_work_group_size: 1
    .uses_dynamic_stack: false
    .vgpr_count:     24
    .vgpr_spill_count: 0
    .wavefront_size: 64
  - .agpr_count:     0
    .args:
      - .offset:         0
        .size:           4
        .value_kind:     by_value
      - .offset:         4
        .size:           4
        .value_kind:     by_value
      - .offset:         8
        .size:           4
        .value_kind:     by_value
      - .offset:         12
        .size:           4
        .value_kind:     by_value
      - .offset:         16
        .size:           8
        .value_kind:     by_value
      - .offset:         24
        .size:           8
        .value_kind:     by_value
      - .offset:         32
        .size:           8
        .value_kind:     by_value
      - .offset:         40
        .size:           8
        .value_kind:     by_value
      - .offset:         48
        .size:           8
        .value_kind:     by_value
      - .actual_access:  read_only
        .address_space:  global
        .offset:         56
        .size:           8
        .value_kind:     global_buffer
      - .offset:         64
        .size:           8
        .value_kind:     by_value
      - .actual_access:  read_only
        .address_space:  global
        .offset:         72
        .size:           8
        .value_kind:     global_buffer
      - .offset:         80
        .size:           8
        .value_kind:     by_value
      - .offset:         88
        .size:           8
        .value_kind:     by_value
      - .address_space:  global
        .offset:         96
        .size:           8
        .value_kind:     global_buffer
      - .actual_access:  read_only
        .address_space:  global
        .offset:         104
        .size:           8
        .value_kind:     global_buffer
      - .offset:         112
        .size:           4
        .value_kind:     by_value
      - .offset:         116
        .size:           1
        .value_kind:     by_value
    .group_segment_fixed_size: 4096
    .kernarg_segment_align: 8
    .kernarg_segment_size: 120
    .language:       OpenCL C
    .language_version:
      - 2
      - 0
    .max_flat_workgroup_size: 512
    .name:           _ZN9rocsparseL16sddmm_ell_kernelILi512ELi1EdlldddEEv20rocsparse_operation_S1_16rocsparse_order_S2_T3_S3_S3_T2_NS_24const_host_device_scalarIT1_EEPKT4_lPKT5_lS7_PT6_PKS3_21rocsparse_index_base_b
    .private_segment_fixed_size: 0
    .sgpr_count:     26
    .sgpr_spill_count: 0
    .symbol:         _ZN9rocsparseL16sddmm_ell_kernelILi512ELi1EdlldddEEv20rocsparse_operation_S1_16rocsparse_order_S2_T3_S3_S3_T2_NS_24const_host_device_scalarIT1_EEPKT4_lPKT5_lS7_PT6_PKS3_21rocsparse_index_base_b.kd
    .uniform_work_group_size: 1
    .uses_dynamic_stack: false
    .vgpr_count:     20
    .vgpr_spill_count: 0
    .wavefront_size: 64
  - .agpr_count:     0
    .args:
      - .offset:         0
        .size:           8
        .value_kind:     by_value
      - .offset:         8
        .size:           8
        .value_kind:     by_value
      - .actual_access:  read_only
        .address_space:  global
        .offset:         16
        .size:           8
        .value_kind:     global_buffer
      - .offset:         24
        .size:           8
        .value_kind:     by_value
      - .offset:         32
        .size:           8
        .value_kind:     by_value
      - .actual_access:  write_only
        .address_space:  global
        .offset:         40
        .size:           8
        .value_kind:     global_buffer
      - .actual_access:  read_only
        .address_space:  global
        .offset:         48
        .size:           8
        .value_kind:     global_buffer
      - .offset:         56
        .size:           4
        .value_kind:     by_value
    .group_segment_fixed_size: 0
    .kernarg_segment_align: 8
    .kernarg_segment_size: 60
    .language:       OpenCL C
    .language_version:
      - 2
      - 0
    .max_flat_workgroup_size: 512
    .name:           _ZN9rocsparseL23sddmm_ell_sample_kernelILi16ELi32E21rocsparse_complex_numIfElS2_EEvT2_S3_PKT3_lS3_PS4_PKS3_21rocsparse_index_base_
    .private_segment_fixed_size: 0
    .sgpr_count:     22
    .sgpr_spill_count: 0
    .symbol:         _ZN9rocsparseL23sddmm_ell_sample_kernelILi16ELi32E21rocsparse_complex_numIfElS2_EEvT2_S3_PKT3_lS3_PS4_PKS3_21rocsparse_index_base_.kd
    .uniform_work_group_size: 1
    .uses_dynamic_stack: false
    .vgpr_count:     14
    .vgpr_spill_count: 0
    .wavefront_size: 64
  - .agpr_count:     0
    .args:
      - .offset:         0
        .size:           8
        .value_kind:     by_value
      - .offset:         8
        .size:           8
        .value_kind:     by_value
      - .actual_access:  read_only
        .address_space:  global
        .offset:         16
        .size:           8
        .value_kind:     global_buffer
      - .offset:         24
        .size:           8
        .value_kind:     by_value
      - .offset:         32
        .size:           8
        .value_kind:     by_value
      - .actual_access:  write_only
        .address_space:  global
        .offset:         40
        .size:           8
        .value_kind:     global_buffer
      - .actual_access:  read_only
        .address_space:  global
        .offset:         48
        .size:           8
        .value_kind:     global_buffer
      - .offset:         56
        .size:           4
        .value_kind:     by_value
    .group_segment_fixed_size: 0
    .kernarg_segment_align: 8
    .kernarg_segment_size: 60
    .language:       OpenCL C
    .language_version:
      - 2
      - 0
    .max_flat_workgroup_size: 1024
    .name:           _ZN9rocsparseL23sddmm_ell_sample_kernelILi16ELi64E21rocsparse_complex_numIfElS2_EEvT2_S3_PKT3_lS3_PS4_PKS3_21rocsparse_index_base_
    .private_segment_fixed_size: 0
    .sgpr_count:     22
    .sgpr_spill_count: 0
    .symbol:         _ZN9rocsparseL23sddmm_ell_sample_kernelILi16ELi64E21rocsparse_complex_numIfElS2_EEvT2_S3_PKT3_lS3_PS4_PKS3_21rocsparse_index_base_.kd
    .uniform_work_group_size: 1
    .uses_dynamic_stack: false
    .vgpr_count:     14
    .vgpr_spill_count: 0
    .wavefront_size: 64
  - .agpr_count:     0
    .args:
      - .offset:         0
        .size:           4
        .value_kind:     by_value
      - .offset:         4
        .size:           4
        .value_kind:     by_value
      - .offset:         8
        .size:           4
        .value_kind:     by_value
      - .offset:         12
        .size:           4
        .value_kind:     by_value
      - .offset:         16
        .size:           8
        .value_kind:     by_value
      - .offset:         24
        .size:           8
        .value_kind:     by_value
      - .offset:         32
        .size:           8
        .value_kind:     by_value
      - .offset:         40
        .size:           8
        .value_kind:     by_value
      - .offset:         48
        .size:           8
        .value_kind:     by_value
      - .actual_access:  read_only
        .address_space:  global
        .offset:         56
        .size:           8
        .value_kind:     global_buffer
      - .offset:         64
        .size:           8
        .value_kind:     by_value
      - .actual_access:  read_only
        .address_space:  global
        .offset:         72
        .size:           8
        .value_kind:     global_buffer
      - .offset:         80
        .size:           8
        .value_kind:     by_value
      - .offset:         88
        .size:           8
        .value_kind:     by_value
      - .address_space:  global
        .offset:         96
        .size:           8
        .value_kind:     global_buffer
      - .actual_access:  read_only
        .address_space:  global
        .offset:         104
        .size:           8
        .value_kind:     global_buffer
      - .offset:         112
        .size:           4
        .value_kind:     by_value
      - .offset:         116
        .size:           1
        .value_kind:     by_value
    .group_segment_fixed_size: 4096
    .kernarg_segment_align: 8
    .kernarg_segment_size: 120
    .language:       OpenCL C
    .language_version:
      - 2
      - 0
    .max_flat_workgroup_size: 512
    .name:           _ZN9rocsparseL16sddmm_ell_kernelILi512ELi8E21rocsparse_complex_numIfEllS2_S2_S2_EEv20rocsparse_operation_S3_16rocsparse_order_S4_T3_S5_S5_T2_NS_24const_host_device_scalarIT1_EEPKT4_lPKT5_lS9_PT6_PKS5_21rocsparse_index_base_b
    .private_segment_fixed_size: 0
    .sgpr_count:     28
    .sgpr_spill_count: 0
    .symbol:         _ZN9rocsparseL16sddmm_ell_kernelILi512ELi8E21rocsparse_complex_numIfEllS2_S2_S2_EEv20rocsparse_operation_S3_16rocsparse_order_S4_T3_S5_S5_T2_NS_24const_host_device_scalarIT1_EEPKT4_lPKT5_lS9_PT6_PKS5_21rocsparse_index_base_b.kd
    .uniform_work_group_size: 1
    .uses_dynamic_stack: false
    .vgpr_count:     26
    .vgpr_spill_count: 0
    .wavefront_size: 64
  - .agpr_count:     0
    .args:
      - .offset:         0
        .size:           4
        .value_kind:     by_value
      - .offset:         4
        .size:           4
        .value_kind:     by_value
      - .offset:         8
        .size:           4
        .value_kind:     by_value
      - .offset:         12
        .size:           4
        .value_kind:     by_value
      - .offset:         16
        .size:           8
        .value_kind:     by_value
      - .offset:         24
        .size:           8
        .value_kind:     by_value
      - .offset:         32
        .size:           8
        .value_kind:     by_value
      - .offset:         40
        .size:           8
        .value_kind:     by_value
      - .offset:         48
        .size:           8
        .value_kind:     by_value
      - .actual_access:  read_only
        .address_space:  global
        .offset:         56
        .size:           8
        .value_kind:     global_buffer
      - .offset:         64
        .size:           8
        .value_kind:     by_value
      - .actual_access:  read_only
        .address_space:  global
        .offset:         72
        .size:           8
        .value_kind:     global_buffer
      - .offset:         80
        .size:           8
        .value_kind:     by_value
      - .offset:         88
        .size:           8
        .value_kind:     by_value
      - .address_space:  global
        .offset:         96
        .size:           8
        .value_kind:     global_buffer
      - .actual_access:  read_only
        .address_space:  global
        .offset:         104
        .size:           8
        .value_kind:     global_buffer
      - .offset:         112
        .size:           4
        .value_kind:     by_value
      - .offset:         116
        .size:           1
        .value_kind:     by_value
    .group_segment_fixed_size: 4096
    .kernarg_segment_align: 8
    .kernarg_segment_size: 120
    .language:       OpenCL C
    .language_version:
      - 2
      - 0
    .max_flat_workgroup_size: 512
    .name:           _ZN9rocsparseL16sddmm_ell_kernelILi512ELi4E21rocsparse_complex_numIfEllS2_S2_S2_EEv20rocsparse_operation_S3_16rocsparse_order_S4_T3_S5_S5_T2_NS_24const_host_device_scalarIT1_EEPKT4_lPKT5_lS9_PT6_PKS5_21rocsparse_index_base_b
    .private_segment_fixed_size: 0
    .sgpr_count:     28
    .sgpr_spill_count: 0
    .symbol:         _ZN9rocsparseL16sddmm_ell_kernelILi512ELi4E21rocsparse_complex_numIfEllS2_S2_S2_EEv20rocsparse_operation_S3_16rocsparse_order_S4_T3_S5_S5_T2_NS_24const_host_device_scalarIT1_EEPKT4_lPKT5_lS9_PT6_PKS5_21rocsparse_index_base_b.kd
    .uniform_work_group_size: 1
    .uses_dynamic_stack: false
    .vgpr_count:     26
    .vgpr_spill_count: 0
    .wavefront_size: 64
  - .agpr_count:     0
    .args:
      - .offset:         0
        .size:           4
        .value_kind:     by_value
      - .offset:         4
        .size:           4
        .value_kind:     by_value
      - .offset:         8
        .size:           4
        .value_kind:     by_value
      - .offset:         12
        .size:           4
        .value_kind:     by_value
      - .offset:         16
        .size:           8
        .value_kind:     by_value
      - .offset:         24
        .size:           8
        .value_kind:     by_value
      - .offset:         32
        .size:           8
        .value_kind:     by_value
      - .offset:         40
        .size:           8
        .value_kind:     by_value
      - .offset:         48
        .size:           8
        .value_kind:     by_value
      - .actual_access:  read_only
        .address_space:  global
        .offset:         56
        .size:           8
        .value_kind:     global_buffer
      - .offset:         64
        .size:           8
        .value_kind:     by_value
      - .actual_access:  read_only
        .address_space:  global
        .offset:         72
        .size:           8
        .value_kind:     global_buffer
      - .offset:         80
        .size:           8
        .value_kind:     by_value
      - .offset:         88
        .size:           8
        .value_kind:     by_value
      - .address_space:  global
        .offset:         96
        .size:           8
        .value_kind:     global_buffer
      - .actual_access:  read_only
        .address_space:  global
        .offset:         104
        .size:           8
        .value_kind:     global_buffer
      - .offset:         112
        .size:           4
        .value_kind:     by_value
      - .offset:         116
        .size:           1
        .value_kind:     by_value
    .group_segment_fixed_size: 4096
    .kernarg_segment_align: 8
    .kernarg_segment_size: 120
    .language:       OpenCL C
    .language_version:
      - 2
      - 0
    .max_flat_workgroup_size: 512
    .name:           _ZN9rocsparseL16sddmm_ell_kernelILi512ELi2E21rocsparse_complex_numIfEllS2_S2_S2_EEv20rocsparse_operation_S3_16rocsparse_order_S4_T3_S5_S5_T2_NS_24const_host_device_scalarIT1_EEPKT4_lPKT5_lS9_PT6_PKS5_21rocsparse_index_base_b
    .private_segment_fixed_size: 0
    .sgpr_count:     28
    .sgpr_spill_count: 0
    .symbol:         _ZN9rocsparseL16sddmm_ell_kernelILi512ELi2E21rocsparse_complex_numIfEllS2_S2_S2_EEv20rocsparse_operation_S3_16rocsparse_order_S4_T3_S5_S5_T2_NS_24const_host_device_scalarIT1_EEPKT4_lPKT5_lS9_PT6_PKS5_21rocsparse_index_base_b.kd
    .uniform_work_group_size: 1
    .uses_dynamic_stack: false
    .vgpr_count:     26
    .vgpr_spill_count: 0
    .wavefront_size: 64
  - .agpr_count:     0
    .args:
      - .offset:         0
        .size:           4
        .value_kind:     by_value
      - .offset:         4
        .size:           4
        .value_kind:     by_value
      - .offset:         8
        .size:           4
        .value_kind:     by_value
      - .offset:         12
        .size:           4
        .value_kind:     by_value
      - .offset:         16
        .size:           8
        .value_kind:     by_value
      - .offset:         24
        .size:           8
        .value_kind:     by_value
      - .offset:         32
        .size:           8
        .value_kind:     by_value
      - .offset:         40
        .size:           8
        .value_kind:     by_value
      - .offset:         48
        .size:           8
        .value_kind:     by_value
      - .actual_access:  read_only
        .address_space:  global
        .offset:         56
        .size:           8
        .value_kind:     global_buffer
      - .offset:         64
        .size:           8
        .value_kind:     by_value
      - .actual_access:  read_only
        .address_space:  global
        .offset:         72
        .size:           8
        .value_kind:     global_buffer
      - .offset:         80
        .size:           8
        .value_kind:     by_value
      - .offset:         88
        .size:           8
        .value_kind:     by_value
      - .address_space:  global
        .offset:         96
        .size:           8
        .value_kind:     global_buffer
      - .actual_access:  read_only
        .address_space:  global
        .offset:         104
        .size:           8
        .value_kind:     global_buffer
      - .offset:         112
        .size:           4
        .value_kind:     by_value
      - .offset:         116
        .size:           1
        .value_kind:     by_value
    .group_segment_fixed_size: 4096
    .kernarg_segment_align: 8
    .kernarg_segment_size: 120
    .language:       OpenCL C
    .language_version:
      - 2
      - 0
    .max_flat_workgroup_size: 512
    .name:           _ZN9rocsparseL16sddmm_ell_kernelILi512ELi1E21rocsparse_complex_numIfEllS2_S2_S2_EEv20rocsparse_operation_S3_16rocsparse_order_S4_T3_S5_S5_T2_NS_24const_host_device_scalarIT1_EEPKT4_lPKT5_lS9_PT6_PKS5_21rocsparse_index_base_b
    .private_segment_fixed_size: 0
    .sgpr_count:     26
    .sgpr_spill_count: 0
    .symbol:         _ZN9rocsparseL16sddmm_ell_kernelILi512ELi1E21rocsparse_complex_numIfEllS2_S2_S2_EEv20rocsparse_operation_S3_16rocsparse_order_S4_T3_S5_S5_T2_NS_24const_host_device_scalarIT1_EEPKT4_lPKT5_lS9_PT6_PKS5_21rocsparse_index_base_b.kd
    .uniform_work_group_size: 1
    .uses_dynamic_stack: false
    .vgpr_count:     22
    .vgpr_spill_count: 0
    .wavefront_size: 64
  - .agpr_count:     0
    .args:
      - .offset:         0
        .size:           8
        .value_kind:     by_value
      - .offset:         8
        .size:           8
        .value_kind:     by_value
      - .actual_access:  read_only
        .address_space:  global
        .offset:         16
        .size:           8
        .value_kind:     global_buffer
      - .offset:         24
        .size:           8
        .value_kind:     by_value
      - .offset:         32
        .size:           8
        .value_kind:     by_value
      - .actual_access:  write_only
        .address_space:  global
        .offset:         40
        .size:           8
        .value_kind:     global_buffer
      - .actual_access:  read_only
        .address_space:  global
        .offset:         48
        .size:           8
        .value_kind:     global_buffer
      - .offset:         56
        .size:           4
        .value_kind:     by_value
    .group_segment_fixed_size: 0
    .kernarg_segment_align: 8
    .kernarg_segment_size: 60
    .language:       OpenCL C
    .language_version:
      - 2
      - 0
    .max_flat_workgroup_size: 512
    .name:           _ZN9rocsparseL23sddmm_ell_sample_kernelILi16ELi32E21rocsparse_complex_numIdElS2_EEvT2_S3_PKT3_lS3_PS4_PKS3_21rocsparse_index_base_
    .private_segment_fixed_size: 0
    .sgpr_count:     22
    .sgpr_spill_count: 0
    .symbol:         _ZN9rocsparseL23sddmm_ell_sample_kernelILi16ELi32E21rocsparse_complex_numIdElS2_EEvT2_S3_PKT3_lS3_PS4_PKS3_21rocsparse_index_base_.kd
    .uniform_work_group_size: 1
    .uses_dynamic_stack: false
    .vgpr_count:     16
    .vgpr_spill_count: 0
    .wavefront_size: 64
  - .agpr_count:     0
    .args:
      - .offset:         0
        .size:           8
        .value_kind:     by_value
      - .offset:         8
        .size:           8
        .value_kind:     by_value
      - .actual_access:  read_only
        .address_space:  global
        .offset:         16
        .size:           8
        .value_kind:     global_buffer
      - .offset:         24
        .size:           8
        .value_kind:     by_value
      - .offset:         32
        .size:           8
        .value_kind:     by_value
      - .actual_access:  write_only
        .address_space:  global
        .offset:         40
        .size:           8
        .value_kind:     global_buffer
      - .actual_access:  read_only
        .address_space:  global
        .offset:         48
        .size:           8
        .value_kind:     global_buffer
      - .offset:         56
        .size:           4
        .value_kind:     by_value
    .group_segment_fixed_size: 0
    .kernarg_segment_align: 8
    .kernarg_segment_size: 60
    .language:       OpenCL C
    .language_version:
      - 2
      - 0
    .max_flat_workgroup_size: 1024
    .name:           _ZN9rocsparseL23sddmm_ell_sample_kernelILi16ELi64E21rocsparse_complex_numIdElS2_EEvT2_S3_PKT3_lS3_PS4_PKS3_21rocsparse_index_base_
    .private_segment_fixed_size: 0
    .sgpr_count:     22
    .sgpr_spill_count: 0
    .symbol:         _ZN9rocsparseL23sddmm_ell_sample_kernelILi16ELi64E21rocsparse_complex_numIdElS2_EEvT2_S3_PKT3_lS3_PS4_PKS3_21rocsparse_index_base_.kd
    .uniform_work_group_size: 1
    .uses_dynamic_stack: false
    .vgpr_count:     16
    .vgpr_spill_count: 0
    .wavefront_size: 64
  - .agpr_count:     0
    .args:
      - .offset:         0
        .size:           4
        .value_kind:     by_value
      - .offset:         4
        .size:           4
        .value_kind:     by_value
      - .offset:         8
        .size:           4
        .value_kind:     by_value
      - .offset:         12
        .size:           4
        .value_kind:     by_value
      - .offset:         16
        .size:           8
        .value_kind:     by_value
      - .offset:         24
        .size:           8
        .value_kind:     by_value
      - .offset:         32
        .size:           8
        .value_kind:     by_value
      - .offset:         40
        .size:           8
        .value_kind:     by_value
      - .offset:         48
        .size:           16
        .value_kind:     by_value
      - .actual_access:  read_only
        .address_space:  global
        .offset:         64
        .size:           8
        .value_kind:     global_buffer
      - .offset:         72
        .size:           8
        .value_kind:     by_value
      - .actual_access:  read_only
        .address_space:  global
        .offset:         80
        .size:           8
        .value_kind:     global_buffer
      - .offset:         88
        .size:           8
        .value_kind:     by_value
      - .offset:         96
        .size:           16
        .value_kind:     by_value
      - .address_space:  global
        .offset:         112
        .size:           8
        .value_kind:     global_buffer
      - .actual_access:  read_only
        .address_space:  global
        .offset:         120
        .size:           8
        .value_kind:     global_buffer
      - .offset:         128
        .size:           4
        .value_kind:     by_value
      - .offset:         132
        .size:           1
        .value_kind:     by_value
    .group_segment_fixed_size: 16384
    .kernarg_segment_align: 8
    .kernarg_segment_size: 136
    .language:       OpenCL C
    .language_version:
      - 2
      - 0
    .max_flat_workgroup_size: 512
    .name:           _ZN9rocsparseL16sddmm_ell_kernelILi512ELi8E21rocsparse_complex_numIdEllS2_S2_S2_EEv20rocsparse_operation_S3_16rocsparse_order_S4_T3_S5_S5_T2_NS_24const_host_device_scalarIT1_EEPKT4_lPKT5_lS9_PT6_PKS5_21rocsparse_index_base_b
    .private_segment_fixed_size: 0
    .sgpr_count:     30
    .sgpr_spill_count: 0
    .symbol:         _ZN9rocsparseL16sddmm_ell_kernelILi512ELi8E21rocsparse_complex_numIdEllS2_S2_S2_EEv20rocsparse_operation_S3_16rocsparse_order_S4_T3_S5_S5_T2_NS_24const_host_device_scalarIT1_EEPKT4_lPKT5_lS9_PT6_PKS5_21rocsparse_index_base_b.kd
    .uniform_work_group_size: 1
    .uses_dynamic_stack: false
    .vgpr_count:     36
    .vgpr_spill_count: 0
    .wavefront_size: 64
  - .agpr_count:     0
    .args:
      - .offset:         0
        .size:           4
        .value_kind:     by_value
      - .offset:         4
        .size:           4
        .value_kind:     by_value
      - .offset:         8
        .size:           4
        .value_kind:     by_value
      - .offset:         12
        .size:           4
        .value_kind:     by_value
      - .offset:         16
        .size:           8
        .value_kind:     by_value
      - .offset:         24
        .size:           8
        .value_kind:     by_value
      - .offset:         32
        .size:           8
        .value_kind:     by_value
      - .offset:         40
        .size:           8
        .value_kind:     by_value
      - .offset:         48
        .size:           16
        .value_kind:     by_value
      - .actual_access:  read_only
        .address_space:  global
        .offset:         64
        .size:           8
        .value_kind:     global_buffer
      - .offset:         72
        .size:           8
        .value_kind:     by_value
      - .actual_access:  read_only
        .address_space:  global
        .offset:         80
        .size:           8
        .value_kind:     global_buffer
      - .offset:         88
        .size:           8
        .value_kind:     by_value
      - .offset:         96
        .size:           16
        .value_kind:     by_value
      - .address_space:  global
        .offset:         112
        .size:           8
        .value_kind:     global_buffer
      - .actual_access:  read_only
        .address_space:  global
        .offset:         120
        .size:           8
        .value_kind:     global_buffer
      - .offset:         128
        .size:           4
        .value_kind:     by_value
      - .offset:         132
        .size:           1
        .value_kind:     by_value
    .group_segment_fixed_size: 16384
    .kernarg_segment_align: 8
    .kernarg_segment_size: 136
    .language:       OpenCL C
    .language_version:
      - 2
      - 0
    .max_flat_workgroup_size: 512
    .name:           _ZN9rocsparseL16sddmm_ell_kernelILi512ELi4E21rocsparse_complex_numIdEllS2_S2_S2_EEv20rocsparse_operation_S3_16rocsparse_order_S4_T3_S5_S5_T2_NS_24const_host_device_scalarIT1_EEPKT4_lPKT5_lS9_PT6_PKS5_21rocsparse_index_base_b
    .private_segment_fixed_size: 0
    .sgpr_count:     30
    .sgpr_spill_count: 0
    .symbol:         _ZN9rocsparseL16sddmm_ell_kernelILi512ELi4E21rocsparse_complex_numIdEllS2_S2_S2_EEv20rocsparse_operation_S3_16rocsparse_order_S4_T3_S5_S5_T2_NS_24const_host_device_scalarIT1_EEPKT4_lPKT5_lS9_PT6_PKS5_21rocsparse_index_base_b.kd
    .uniform_work_group_size: 1
    .uses_dynamic_stack: false
    .vgpr_count:     36
    .vgpr_spill_count: 0
    .wavefront_size: 64
  - .agpr_count:     0
    .args:
      - .offset:         0
        .size:           4
        .value_kind:     by_value
      - .offset:         4
        .size:           4
        .value_kind:     by_value
      - .offset:         8
        .size:           4
        .value_kind:     by_value
      - .offset:         12
        .size:           4
        .value_kind:     by_value
      - .offset:         16
        .size:           8
        .value_kind:     by_value
      - .offset:         24
        .size:           8
        .value_kind:     by_value
      - .offset:         32
        .size:           8
        .value_kind:     by_value
      - .offset:         40
        .size:           8
        .value_kind:     by_value
      - .offset:         48
        .size:           16
        .value_kind:     by_value
      - .actual_access:  read_only
        .address_space:  global
        .offset:         64
        .size:           8
        .value_kind:     global_buffer
      - .offset:         72
        .size:           8
        .value_kind:     by_value
      - .actual_access:  read_only
        .address_space:  global
        .offset:         80
        .size:           8
        .value_kind:     global_buffer
      - .offset:         88
        .size:           8
        .value_kind:     by_value
      - .offset:         96
        .size:           16
        .value_kind:     by_value
      - .address_space:  global
        .offset:         112
        .size:           8
        .value_kind:     global_buffer
      - .actual_access:  read_only
        .address_space:  global
        .offset:         120
        .size:           8
        .value_kind:     global_buffer
      - .offset:         128
        .size:           4
        .value_kind:     by_value
      - .offset:         132
        .size:           1
        .value_kind:     by_value
    .group_segment_fixed_size: 16384
    .kernarg_segment_align: 8
    .kernarg_segment_size: 136
    .language:       OpenCL C
    .language_version:
      - 2
      - 0
    .max_flat_workgroup_size: 512
    .name:           _ZN9rocsparseL16sddmm_ell_kernelILi512ELi2E21rocsparse_complex_numIdEllS2_S2_S2_EEv20rocsparse_operation_S3_16rocsparse_order_S4_T3_S5_S5_T2_NS_24const_host_device_scalarIT1_EEPKT4_lPKT5_lS9_PT6_PKS5_21rocsparse_index_base_b
    .private_segment_fixed_size: 0
    .sgpr_count:     30
    .sgpr_spill_count: 0
    .symbol:         _ZN9rocsparseL16sddmm_ell_kernelILi512ELi2E21rocsparse_complex_numIdEllS2_S2_S2_EEv20rocsparse_operation_S3_16rocsparse_order_S4_T3_S5_S5_T2_NS_24const_host_device_scalarIT1_EEPKT4_lPKT5_lS9_PT6_PKS5_21rocsparse_index_base_b.kd
    .uniform_work_group_size: 1
    .uses_dynamic_stack: false
    .vgpr_count:     36
    .vgpr_spill_count: 0
    .wavefront_size: 64
  - .agpr_count:     0
    .args:
      - .offset:         0
        .size:           4
        .value_kind:     by_value
      - .offset:         4
        .size:           4
        .value_kind:     by_value
      - .offset:         8
        .size:           4
        .value_kind:     by_value
      - .offset:         12
        .size:           4
        .value_kind:     by_value
      - .offset:         16
        .size:           8
        .value_kind:     by_value
      - .offset:         24
        .size:           8
        .value_kind:     by_value
      - .offset:         32
        .size:           8
        .value_kind:     by_value
      - .offset:         40
        .size:           8
        .value_kind:     by_value
      - .offset:         48
        .size:           16
        .value_kind:     by_value
      - .actual_access:  read_only
        .address_space:  global
        .offset:         64
        .size:           8
        .value_kind:     global_buffer
      - .offset:         72
        .size:           8
        .value_kind:     by_value
      - .actual_access:  read_only
        .address_space:  global
        .offset:         80
        .size:           8
        .value_kind:     global_buffer
      - .offset:         88
        .size:           8
        .value_kind:     by_value
      - .offset:         96
        .size:           16
        .value_kind:     by_value
      - .address_space:  global
        .offset:         112
        .size:           8
        .value_kind:     global_buffer
      - .actual_access:  read_only
        .address_space:  global
        .offset:         120
        .size:           8
        .value_kind:     global_buffer
      - .offset:         128
        .size:           4
        .value_kind:     by_value
      - .offset:         132
        .size:           1
        .value_kind:     by_value
    .group_segment_fixed_size: 16384
    .kernarg_segment_align: 8
    .kernarg_segment_size: 136
    .language:       OpenCL C
    .language_version:
      - 2
      - 0
    .max_flat_workgroup_size: 512
    .name:           _ZN9rocsparseL16sddmm_ell_kernelILi512ELi1E21rocsparse_complex_numIdEllS2_S2_S2_EEv20rocsparse_operation_S3_16rocsparse_order_S4_T3_S5_S5_T2_NS_24const_host_device_scalarIT1_EEPKT4_lPKT5_lS9_PT6_PKS5_21rocsparse_index_base_b
    .private_segment_fixed_size: 0
    .sgpr_count:     30
    .sgpr_spill_count: 0
    .symbol:         _ZN9rocsparseL16sddmm_ell_kernelILi512ELi1E21rocsparse_complex_numIdEllS2_S2_S2_EEv20rocsparse_operation_S3_16rocsparse_order_S4_T3_S5_S5_T2_NS_24const_host_device_scalarIT1_EEPKT4_lPKT5_lS9_PT6_PKS5_21rocsparse_index_base_b.kd
    .uniform_work_group_size: 1
    .uses_dynamic_stack: false
    .vgpr_count:     32
    .vgpr_spill_count: 0
    .wavefront_size: 64
  - .agpr_count:     0
    .args:
      - .offset:         0
        .size:           4
        .value_kind:     by_value
      - .offset:         4
        .size:           4
        .value_kind:     by_value
      - .offset:         8
        .size:           4
        .value_kind:     by_value
      - .offset:         12
        .size:           4
        .value_kind:     by_value
      - .offset:         16
        .size:           4
        .value_kind:     by_value
      - .offset:         20
        .size:           4
        .value_kind:     by_value
      - .offset:         24
        .size:           4
        .value_kind:     by_value
      - .offset:         28
        .size:           4
        .value_kind:     by_value
      - .offset:         32
        .size:           8
        .value_kind:     by_value
      - .actual_access:  read_only
        .address_space:  global
        .offset:         40
        .size:           8
        .value_kind:     global_buffer
      - .offset:         48
        .size:           8
        .value_kind:     by_value
      - .actual_access:  read_only
        .address_space:  global
        .offset:         56
        .size:           8
        .value_kind:     global_buffer
      - .offset:         64
        .size:           8
        .value_kind:     by_value
      - .offset:         72
        .size:           8
        .value_kind:     by_value
      - .address_space:  global
        .offset:         80
        .size:           8
        .value_kind:     global_buffer
      - .actual_access:  read_only
        .address_space:  global
        .offset:         88
        .size:           8
        .value_kind:     global_buffer
      - .offset:         96
        .size:           4
        .value_kind:     by_value
      - .offset:         100
        .size:           1
        .value_kind:     by_value
    .group_segment_fixed_size: 2048
    .kernarg_segment_align: 8
    .kernarg_segment_size: 104
    .language:       OpenCL C
    .language_version:
      - 2
      - 0
    .max_flat_workgroup_size: 512
    .name:           _ZN9rocsparseL16sddmm_ell_kernelILi512ELi8EfiiDF16_DF16_fEEv20rocsparse_operation_S1_16rocsparse_order_S2_T3_S3_S3_T2_NS_24const_host_device_scalarIT1_EEPKT4_lPKT5_lS7_PT6_PKS3_21rocsparse_index_base_b
    .private_segment_fixed_size: 0
    .sgpr_count:     32
    .sgpr_spill_count: 0
    .symbol:         _ZN9rocsparseL16sddmm_ell_kernelILi512ELi8EfiiDF16_DF16_fEEv20rocsparse_operation_S1_16rocsparse_order_S2_T3_S3_S3_T2_NS_24const_host_device_scalarIT1_EEPKT4_lPKT5_lS7_PT6_PKS3_21rocsparse_index_base_b.kd
    .uniform_work_group_size: 1
    .uses_dynamic_stack: false
    .vgpr_count:     14
    .vgpr_spill_count: 0
    .wavefront_size: 64
  - .agpr_count:     0
    .args:
      - .offset:         0
        .size:           4
        .value_kind:     by_value
      - .offset:         4
        .size:           4
        .value_kind:     by_value
      - .offset:         8
        .size:           4
        .value_kind:     by_value
      - .offset:         12
        .size:           4
        .value_kind:     by_value
      - .offset:         16
        .size:           4
        .value_kind:     by_value
      - .offset:         20
        .size:           4
        .value_kind:     by_value
      - .offset:         24
        .size:           4
        .value_kind:     by_value
      - .offset:         28
        .size:           4
        .value_kind:     by_value
      - .offset:         32
        .size:           8
        .value_kind:     by_value
      - .actual_access:  read_only
        .address_space:  global
        .offset:         40
        .size:           8
        .value_kind:     global_buffer
      - .offset:         48
        .size:           8
        .value_kind:     by_value
      - .actual_access:  read_only
        .address_space:  global
        .offset:         56
        .size:           8
        .value_kind:     global_buffer
      - .offset:         64
        .size:           8
        .value_kind:     by_value
      - .offset:         72
        .size:           8
        .value_kind:     by_value
      - .address_space:  global
        .offset:         80
        .size:           8
        .value_kind:     global_buffer
      - .actual_access:  read_only
        .address_space:  global
        .offset:         88
        .size:           8
        .value_kind:     global_buffer
      - .offset:         96
        .size:           4
        .value_kind:     by_value
      - .offset:         100
        .size:           1
        .value_kind:     by_value
    .group_segment_fixed_size: 2048
    .kernarg_segment_align: 8
    .kernarg_segment_size: 104
    .language:       OpenCL C
    .language_version:
      - 2
      - 0
    .max_flat_workgroup_size: 512
    .name:           _ZN9rocsparseL16sddmm_ell_kernelILi512ELi4EfiiDF16_DF16_fEEv20rocsparse_operation_S1_16rocsparse_order_S2_T3_S3_S3_T2_NS_24const_host_device_scalarIT1_EEPKT4_lPKT5_lS7_PT6_PKS3_21rocsparse_index_base_b
    .private_segment_fixed_size: 0
    .sgpr_count:     32
    .sgpr_spill_count: 0
    .symbol:         _ZN9rocsparseL16sddmm_ell_kernelILi512ELi4EfiiDF16_DF16_fEEv20rocsparse_operation_S1_16rocsparse_order_S2_T3_S3_S3_T2_NS_24const_host_device_scalarIT1_EEPKT4_lPKT5_lS7_PT6_PKS3_21rocsparse_index_base_b.kd
    .uniform_work_group_size: 1
    .uses_dynamic_stack: false
    .vgpr_count:     14
    .vgpr_spill_count: 0
    .wavefront_size: 64
  - .agpr_count:     0
    .args:
      - .offset:         0
        .size:           4
        .value_kind:     by_value
      - .offset:         4
        .size:           4
        .value_kind:     by_value
      - .offset:         8
        .size:           4
        .value_kind:     by_value
      - .offset:         12
        .size:           4
        .value_kind:     by_value
      - .offset:         16
        .size:           4
        .value_kind:     by_value
      - .offset:         20
        .size:           4
        .value_kind:     by_value
      - .offset:         24
        .size:           4
        .value_kind:     by_value
      - .offset:         28
        .size:           4
        .value_kind:     by_value
      - .offset:         32
        .size:           8
        .value_kind:     by_value
      - .actual_access:  read_only
        .address_space:  global
        .offset:         40
        .size:           8
        .value_kind:     global_buffer
      - .offset:         48
        .size:           8
        .value_kind:     by_value
      - .actual_access:  read_only
        .address_space:  global
        .offset:         56
        .size:           8
        .value_kind:     global_buffer
      - .offset:         64
        .size:           8
        .value_kind:     by_value
      - .offset:         72
        .size:           8
        .value_kind:     by_value
      - .address_space:  global
        .offset:         80
        .size:           8
        .value_kind:     global_buffer
      - .actual_access:  read_only
        .address_space:  global
        .offset:         88
        .size:           8
        .value_kind:     global_buffer
      - .offset:         96
        .size:           4
        .value_kind:     by_value
      - .offset:         100
        .size:           1
        .value_kind:     by_value
    .group_segment_fixed_size: 2048
    .kernarg_segment_align: 8
    .kernarg_segment_size: 104
    .language:       OpenCL C
    .language_version:
      - 2
      - 0
    .max_flat_workgroup_size: 512
    .name:           _ZN9rocsparseL16sddmm_ell_kernelILi512ELi2EfiiDF16_DF16_fEEv20rocsparse_operation_S1_16rocsparse_order_S2_T3_S3_S3_T2_NS_24const_host_device_scalarIT1_EEPKT4_lPKT5_lS7_PT6_PKS3_21rocsparse_index_base_b
    .private_segment_fixed_size: 0
    .sgpr_count:     32
    .sgpr_spill_count: 0
    .symbol:         _ZN9rocsparseL16sddmm_ell_kernelILi512ELi2EfiiDF16_DF16_fEEv20rocsparse_operation_S1_16rocsparse_order_S2_T3_S3_S3_T2_NS_24const_host_device_scalarIT1_EEPKT4_lPKT5_lS7_PT6_PKS3_21rocsparse_index_base_b.kd
    .uniform_work_group_size: 1
    .uses_dynamic_stack: false
    .vgpr_count:     14
    .vgpr_spill_count: 0
    .wavefront_size: 64
  - .agpr_count:     0
    .args:
      - .offset:         0
        .size:           4
        .value_kind:     by_value
      - .offset:         4
        .size:           4
        .value_kind:     by_value
      - .offset:         8
        .size:           4
        .value_kind:     by_value
      - .offset:         12
        .size:           4
        .value_kind:     by_value
      - .offset:         16
        .size:           4
        .value_kind:     by_value
      - .offset:         20
        .size:           4
        .value_kind:     by_value
      - .offset:         24
        .size:           4
        .value_kind:     by_value
      - .offset:         28
        .size:           4
        .value_kind:     by_value
      - .offset:         32
        .size:           8
        .value_kind:     by_value
      - .actual_access:  read_only
        .address_space:  global
        .offset:         40
        .size:           8
        .value_kind:     global_buffer
      - .offset:         48
        .size:           8
        .value_kind:     by_value
      - .actual_access:  read_only
        .address_space:  global
        .offset:         56
        .size:           8
        .value_kind:     global_buffer
      - .offset:         64
        .size:           8
        .value_kind:     by_value
      - .offset:         72
        .size:           8
        .value_kind:     by_value
      - .address_space:  global
        .offset:         80
        .size:           8
        .value_kind:     global_buffer
      - .actual_access:  read_only
        .address_space:  global
        .offset:         88
        .size:           8
        .value_kind:     global_buffer
      - .offset:         96
        .size:           4
        .value_kind:     by_value
      - .offset:         100
        .size:           1
        .value_kind:     by_value
    .group_segment_fixed_size: 2048
    .kernarg_segment_align: 8
    .kernarg_segment_size: 104
    .language:       OpenCL C
    .language_version:
      - 2
      - 0
    .max_flat_workgroup_size: 512
    .name:           _ZN9rocsparseL16sddmm_ell_kernelILi512ELi1EfiiDF16_DF16_fEEv20rocsparse_operation_S1_16rocsparse_order_S2_T3_S3_S3_T2_NS_24const_host_device_scalarIT1_EEPKT4_lPKT5_lS7_PT6_PKS3_21rocsparse_index_base_b
    .private_segment_fixed_size: 0
    .sgpr_count:     30
    .sgpr_spill_count: 0
    .symbol:         _ZN9rocsparseL16sddmm_ell_kernelILi512ELi1EfiiDF16_DF16_fEEv20rocsparse_operation_S1_16rocsparse_order_S2_T3_S3_S3_T2_NS_24const_host_device_scalarIT1_EEPKT4_lPKT5_lS7_PT6_PKS3_21rocsparse_index_base_b.kd
    .uniform_work_group_size: 1
    .uses_dynamic_stack: false
    .vgpr_count:     12
    .vgpr_spill_count: 0
    .wavefront_size: 64
  - .agpr_count:     0
    .args:
      - .offset:         0
        .size:           4
        .value_kind:     by_value
      - .offset:         4
        .size:           4
        .value_kind:     by_value
      - .offset:         8
        .size:           4
        .value_kind:     by_value
      - .offset:         12
        .size:           4
        .value_kind:     by_value
      - .offset:         16
        .size:           8
        .value_kind:     by_value
      - .offset:         24
        .size:           8
        .value_kind:     by_value
      - .offset:         32
        .size:           8
        .value_kind:     by_value
      - .offset:         40
        .size:           8
        .value_kind:     by_value
      - .offset:         48
        .size:           8
        .value_kind:     by_value
      - .actual_access:  read_only
        .address_space:  global
        .offset:         56
        .size:           8
        .value_kind:     global_buffer
      - .offset:         64
        .size:           8
        .value_kind:     by_value
      - .actual_access:  read_only
        .address_space:  global
        .offset:         72
        .size:           8
        .value_kind:     global_buffer
      - .offset:         80
        .size:           8
        .value_kind:     by_value
      - .offset:         88
        .size:           8
        .value_kind:     by_value
      - .address_space:  global
        .offset:         96
        .size:           8
        .value_kind:     global_buffer
      - .actual_access:  read_only
        .address_space:  global
        .offset:         104
        .size:           8
        .value_kind:     global_buffer
      - .offset:         112
        .size:           4
        .value_kind:     by_value
      - .offset:         116
        .size:           1
        .value_kind:     by_value
    .group_segment_fixed_size: 2048
    .kernarg_segment_align: 8
    .kernarg_segment_size: 120
    .language:       OpenCL C
    .language_version:
      - 2
      - 0
    .max_flat_workgroup_size: 512
    .name:           _ZN9rocsparseL16sddmm_ell_kernelILi512ELi8EfllDF16_DF16_fEEv20rocsparse_operation_S1_16rocsparse_order_S2_T3_S3_S3_T2_NS_24const_host_device_scalarIT1_EEPKT4_lPKT5_lS7_PT6_PKS3_21rocsparse_index_base_b
    .private_segment_fixed_size: 0
    .sgpr_count:     32
    .sgpr_spill_count: 0
    .symbol:         _ZN9rocsparseL16sddmm_ell_kernelILi512ELi8EfllDF16_DF16_fEEv20rocsparse_operation_S1_16rocsparse_order_S2_T3_S3_S3_T2_NS_24const_host_device_scalarIT1_EEPKT4_lPKT5_lS7_PT6_PKS3_21rocsparse_index_base_b.kd
    .uniform_work_group_size: 1
    .uses_dynamic_stack: false
    .vgpr_count:     15
    .vgpr_spill_count: 0
    .wavefront_size: 64
  - .agpr_count:     0
    .args:
      - .offset:         0
        .size:           4
        .value_kind:     by_value
      - .offset:         4
        .size:           4
        .value_kind:     by_value
      - .offset:         8
        .size:           4
        .value_kind:     by_value
      - .offset:         12
        .size:           4
        .value_kind:     by_value
      - .offset:         16
        .size:           8
        .value_kind:     by_value
      - .offset:         24
        .size:           8
        .value_kind:     by_value
      - .offset:         32
        .size:           8
        .value_kind:     by_value
      - .offset:         40
        .size:           8
        .value_kind:     by_value
      - .offset:         48
        .size:           8
        .value_kind:     by_value
      - .actual_access:  read_only
        .address_space:  global
        .offset:         56
        .size:           8
        .value_kind:     global_buffer
      - .offset:         64
        .size:           8
        .value_kind:     by_value
      - .actual_access:  read_only
        .address_space:  global
        .offset:         72
        .size:           8
        .value_kind:     global_buffer
      - .offset:         80
        .size:           8
        .value_kind:     by_value
      - .offset:         88
        .size:           8
        .value_kind:     by_value
      - .address_space:  global
        .offset:         96
        .size:           8
        .value_kind:     global_buffer
      - .actual_access:  read_only
        .address_space:  global
        .offset:         104
        .size:           8
        .value_kind:     global_buffer
      - .offset:         112
        .size:           4
        .value_kind:     by_value
      - .offset:         116
        .size:           1
        .value_kind:     by_value
    .group_segment_fixed_size: 2048
    .kernarg_segment_align: 8
    .kernarg_segment_size: 120
    .language:       OpenCL C
    .language_version:
      - 2
      - 0
    .max_flat_workgroup_size: 512
    .name:           _ZN9rocsparseL16sddmm_ell_kernelILi512ELi4EfllDF16_DF16_fEEv20rocsparse_operation_S1_16rocsparse_order_S2_T3_S3_S3_T2_NS_24const_host_device_scalarIT1_EEPKT4_lPKT5_lS7_PT6_PKS3_21rocsparse_index_base_b
    .private_segment_fixed_size: 0
    .sgpr_count:     32
    .sgpr_spill_count: 0
    .symbol:         _ZN9rocsparseL16sddmm_ell_kernelILi512ELi4EfllDF16_DF16_fEEv20rocsparse_operation_S1_16rocsparse_order_S2_T3_S3_S3_T2_NS_24const_host_device_scalarIT1_EEPKT4_lPKT5_lS7_PT6_PKS3_21rocsparse_index_base_b.kd
    .uniform_work_group_size: 1
    .uses_dynamic_stack: false
    .vgpr_count:     15
    .vgpr_spill_count: 0
    .wavefront_size: 64
  - .agpr_count:     0
    .args:
      - .offset:         0
        .size:           4
        .value_kind:     by_value
      - .offset:         4
        .size:           4
        .value_kind:     by_value
      - .offset:         8
        .size:           4
        .value_kind:     by_value
      - .offset:         12
        .size:           4
        .value_kind:     by_value
      - .offset:         16
        .size:           8
        .value_kind:     by_value
      - .offset:         24
        .size:           8
        .value_kind:     by_value
      - .offset:         32
        .size:           8
        .value_kind:     by_value
      - .offset:         40
        .size:           8
        .value_kind:     by_value
      - .offset:         48
        .size:           8
        .value_kind:     by_value
      - .actual_access:  read_only
        .address_space:  global
        .offset:         56
        .size:           8
        .value_kind:     global_buffer
      - .offset:         64
        .size:           8
        .value_kind:     by_value
      - .actual_access:  read_only
        .address_space:  global
        .offset:         72
        .size:           8
        .value_kind:     global_buffer
      - .offset:         80
        .size:           8
        .value_kind:     by_value
      - .offset:         88
        .size:           8
        .value_kind:     by_value
      - .address_space:  global
        .offset:         96
        .size:           8
        .value_kind:     global_buffer
      - .actual_access:  read_only
        .address_space:  global
        .offset:         104
        .size:           8
        .value_kind:     global_buffer
      - .offset:         112
        .size:           4
        .value_kind:     by_value
      - .offset:         116
        .size:           1
        .value_kind:     by_value
    .group_segment_fixed_size: 2048
    .kernarg_segment_align: 8
    .kernarg_segment_size: 120
    .language:       OpenCL C
    .language_version:
      - 2
      - 0
    .max_flat_workgroup_size: 512
    .name:           _ZN9rocsparseL16sddmm_ell_kernelILi512ELi2EfllDF16_DF16_fEEv20rocsparse_operation_S1_16rocsparse_order_S2_T3_S3_S3_T2_NS_24const_host_device_scalarIT1_EEPKT4_lPKT5_lS7_PT6_PKS3_21rocsparse_index_base_b
    .private_segment_fixed_size: 0
    .sgpr_count:     32
    .sgpr_spill_count: 0
    .symbol:         _ZN9rocsparseL16sddmm_ell_kernelILi512ELi2EfllDF16_DF16_fEEv20rocsparse_operation_S1_16rocsparse_order_S2_T3_S3_S3_T2_NS_24const_host_device_scalarIT1_EEPKT4_lPKT5_lS7_PT6_PKS3_21rocsparse_index_base_b.kd
    .uniform_work_group_size: 1
    .uses_dynamic_stack: false
    .vgpr_count:     15
    .vgpr_spill_count: 0
    .wavefront_size: 64
  - .agpr_count:     0
    .args:
      - .offset:         0
        .size:           4
        .value_kind:     by_value
      - .offset:         4
        .size:           4
        .value_kind:     by_value
      - .offset:         8
        .size:           4
        .value_kind:     by_value
      - .offset:         12
        .size:           4
        .value_kind:     by_value
      - .offset:         16
        .size:           8
        .value_kind:     by_value
      - .offset:         24
        .size:           8
        .value_kind:     by_value
      - .offset:         32
        .size:           8
        .value_kind:     by_value
      - .offset:         40
        .size:           8
        .value_kind:     by_value
      - .offset:         48
        .size:           8
        .value_kind:     by_value
      - .actual_access:  read_only
        .address_space:  global
        .offset:         56
        .size:           8
        .value_kind:     global_buffer
      - .offset:         64
        .size:           8
        .value_kind:     by_value
      - .actual_access:  read_only
        .address_space:  global
        .offset:         72
        .size:           8
        .value_kind:     global_buffer
      - .offset:         80
        .size:           8
        .value_kind:     by_value
      - .offset:         88
        .size:           8
        .value_kind:     by_value
      - .address_space:  global
        .offset:         96
        .size:           8
        .value_kind:     global_buffer
      - .actual_access:  read_only
        .address_space:  global
        .offset:         104
        .size:           8
        .value_kind:     global_buffer
      - .offset:         112
        .size:           4
        .value_kind:     by_value
      - .offset:         116
        .size:           1
        .value_kind:     by_value
    .group_segment_fixed_size: 2048
    .kernarg_segment_align: 8
    .kernarg_segment_size: 120
    .language:       OpenCL C
    .language_version:
      - 2
      - 0
    .max_flat_workgroup_size: 512
    .name:           _ZN9rocsparseL16sddmm_ell_kernelILi512ELi1EfllDF16_DF16_fEEv20rocsparse_operation_S1_16rocsparse_order_S2_T3_S3_S3_T2_NS_24const_host_device_scalarIT1_EEPKT4_lPKT5_lS7_PT6_PKS3_21rocsparse_index_base_b
    .private_segment_fixed_size: 0
    .sgpr_count:     30
    .sgpr_spill_count: 0
    .symbol:         _ZN9rocsparseL16sddmm_ell_kernelILi512ELi1EfllDF16_DF16_fEEv20rocsparse_operation_S1_16rocsparse_order_S2_T3_S3_S3_T2_NS_24const_host_device_scalarIT1_EEPKT4_lPKT5_lS7_PT6_PKS3_21rocsparse_index_base_b.kd
    .uniform_work_group_size: 1
    .uses_dynamic_stack: false
    .vgpr_count:     12
    .vgpr_spill_count: 0
    .wavefront_size: 64
amdhsa.target:   amdgcn-amd-amdhsa--gfx90a
amdhsa.version:
  - 1
  - 2
...

	.end_amdgpu_metadata
